;; amdgpu-corpus repo=ROCm/rocFFT kind=compiled arch=gfx1201 opt=O3
	.text
	.amdgcn_target "amdgcn-amd-amdhsa--gfx1201"
	.amdhsa_code_object_version 6
	.protected	bluestein_single_fwd_len375_dim1_dp_op_CI_CI ; -- Begin function bluestein_single_fwd_len375_dim1_dp_op_CI_CI
	.globl	bluestein_single_fwd_len375_dim1_dp_op_CI_CI
	.p2align	8
	.type	bluestein_single_fwd_len375_dim1_dp_op_CI_CI,@function
bluestein_single_fwd_len375_dim1_dp_op_CI_CI: ; @bluestein_single_fwd_len375_dim1_dp_op_CI_CI
; %bb.0:
	s_load_b128 s[16:19], s[0:1], 0x28
	v_mul_u32_u24_e32 v1, 0xa3e, v0
	s_mov_b32 s2, exec_lo
	s_delay_alu instid0(VALU_DEP_1) | instskip(NEXT) | instid1(VALU_DEP_1)
	v_lshrrev_b32_e32 v1, 16, v1
	v_mad_co_u64_u32 v[180:181], null, ttmp9, 5, v[1:2]
	v_mov_b32_e32 v181, 0
	s_wait_kmcnt 0x0
	s_delay_alu instid0(VALU_DEP_1)
	v_cmpx_gt_u64_e64 s[16:17], v[180:181]
	s_cbranch_execz .LBB0_2
; %bb.1:
	s_clause 0x1
	s_load_b128 s[4:7], s[0:1], 0x18
	s_load_b128 s[8:11], s[0:1], 0x0
	v_mul_lo_u16 v1, v1, 25
	s_mov_b32 s16, 0x134454ff
	s_mov_b32 s17, 0x3fee6f0e
	;; [unrolled: 1-line block ×3, first 2 shown]
	s_load_b64 s[0:1], s[0:1], 0x38
	v_sub_nc_u16 v64, v0, v1
	s_delay_alu instid0(VALU_DEP_1) | instskip(NEXT) | instid1(VALU_DEP_1)
	v_and_b32_e32 v7, 0xffff, v64
	v_mov_b32_e32 v151, v7
	s_wait_kmcnt 0x0
	s_load_b128 s[12:15], s[4:5], 0x0
	s_delay_alu instid0(VALU_DEP_1)
	v_lshlrev_b32_e32 v183, 4, v151
	s_wait_kmcnt 0x0
	v_mad_co_u64_u32 v[0:1], null, s14, v180, 0
	v_mad_co_u64_u32 v[2:3], null, s12, v7, 0
	s_mul_u64 s[2:3], s[12:13], 0x4b0
	s_mul_i32 s4, s13, 0xffffeed0
	s_delay_alu instid0(SALU_CYCLE_1) | instskip(NEXT) | instid1(VALU_DEP_1)
	s_sub_co_i32 s4, s4, s12
	v_mad_co_u64_u32 v[4:5], null, s15, v180, v[1:2]
	s_mov_b32 s14, 0x372fe950
	s_mov_b32 s15, 0x3fd3c6ef
	s_delay_alu instid0(VALU_DEP_1) | instskip(SKIP_2) | instid1(VALU_DEP_1)
	v_mad_co_u64_u32 v[5:6], null, s13, v7, v[3:4]
	v_mov_b32_e32 v1, v4
	s_mov_b32 s13, 0xbfe2cf23
	v_lshlrev_b64_e32 v[0:1], 4, v[0:1]
	s_delay_alu instid0(VALU_DEP_3) | instskip(NEXT) | instid1(VALU_DEP_2)
	v_mov_b32_e32 v3, v5
	v_add_co_u32 v0, vcc_lo, s18, v0
	s_delay_alu instid0(VALU_DEP_2) | instskip(NEXT) | instid1(VALU_DEP_4)
	v_lshlrev_b64_e32 v[2:3], 4, v[2:3]
	v_add_co_ci_u32_e32 v1, vcc_lo, s19, v1, vcc_lo
	s_mov_b32 s19, 0xbfee6f0e
	s_mov_b32 s18, s16
	s_delay_alu instid0(VALU_DEP_2)
	v_add_co_u32 v0, vcc_lo, v0, v2
	s_wait_alu 0xfffd
	v_add_co_ci_u32_e32 v1, vcc_lo, v1, v3, vcc_lo
	global_load_b128 v[6:9], v183, s[8:9]
	global_load_b128 v[12:15], v[0:1], off
	v_add_co_u32 v0, vcc_lo, v0, s2
	s_wait_alu 0xfffd
	v_add_co_ci_u32_e32 v1, vcc_lo, s3, v1, vcc_lo
	global_load_b128 v[24:27], v183, s[8:9] offset:1200
	global_load_b128 v[16:19], v[0:1], off
	v_add_co_u32 v0, vcc_lo, v0, s2
	s_wait_alu 0xfffd
	v_add_co_ci_u32_e32 v1, vcc_lo, s3, v1, vcc_lo
	global_load_b128 v[28:31], v183, s[8:9] offset:2400
	global_load_b128 v[20:23], v[0:1], off
	v_add_co_u32 v0, vcc_lo, v0, s2
	s_wait_alu 0xfffd
	v_add_co_ci_u32_e32 v1, vcc_lo, s3, v1, vcc_lo
	s_wait_loadcnt 0x5
	scratch_store_b128 off, v[6:9], off offset:224 ; 16-byte Folded Spill
	s_wait_loadcnt 0x4
	v_mul_f64_e32 v[2:3], v[14:15], v[8:9]
	v_mul_f64_e32 v[4:5], v[12:13], v[8:9]
	s_wait_loadcnt 0x3
	scratch_store_b128 off, v[24:27], off   ; 16-byte Folded Spill
	s_wait_loadcnt 0x1
	scratch_store_b128 off, v[28:31], off offset:16 ; 16-byte Folded Spill
	v_fma_f64 v[60:61], v[12:13], v[6:7], v[2:3]
	v_fma_f64 v[62:63], v[14:15], v[6:7], -v[4:5]
	v_mul_f64_e32 v[2:3], v[18:19], v[26:27]
	v_mul_f64_e32 v[4:5], v[16:17], v[26:27]
	global_load_b128 v[6:9], v183, s[8:9] offset:3600
	v_fma_f64 v[65:66], v[16:17], v[24:25], v[2:3]
	v_fma_f64 v[67:68], v[18:19], v[24:25], -v[4:5]
	global_load_b128 v[16:19], v[0:1], off
	s_wait_loadcnt 0x2
	v_mul_f64_e32 v[2:3], v[22:23], v[30:31]
	v_mul_f64_e32 v[4:5], v[20:21], v[30:31]
	v_add_co_u32 v0, vcc_lo, v0, s2
	s_wait_alu 0xfffd
	v_add_co_ci_u32_e32 v1, vcc_lo, s3, v1, vcc_lo
	s_delay_alu instid0(VALU_DEP_4) | instskip(NEXT) | instid1(VALU_DEP_4)
	v_fma_f64 v[69:70], v[20:21], v[28:29], v[2:3]
	v_fma_f64 v[71:72], v[22:23], v[28:29], -v[4:5]
	global_load_b128 v[20:23], v[0:1], off
	v_mad_co_u64_u32 v[0:1], null, 0xffffeed0, s12, v[0:1]
	s_delay_alu instid0(VALU_DEP_1)
	v_add_nc_u32_e32 v1, s4, v1
	global_load_b128 v[24:27], v[0:1], off
	v_add_co_u32 v0, vcc_lo, v0, s2
	s_wait_alu 0xfffd
	v_add_co_ci_u32_e32 v1, vcc_lo, s3, v1, vcc_lo
	global_load_b128 v[28:31], v[0:1], off
	v_add_co_u32 v0, vcc_lo, v0, s2
	s_wait_alu 0xfffd
	v_add_co_ci_u32_e32 v1, vcc_lo, s3, v1, vcc_lo
	;; [unrolled: 4-line block ×4, first 2 shown]
	global_load_b128 v[40:43], v[0:1], off
	v_mad_co_u64_u32 v[0:1], null, 0xffffeed0, s12, v[0:1]
	s_delay_alu instid0(VALU_DEP_1)
	v_add_nc_u32_e32 v1, s4, v1
	global_load_b128 v[44:47], v[0:1], off
	v_add_co_u32 v0, vcc_lo, v0, s2
	s_wait_alu 0xfffd
	v_add_co_ci_u32_e32 v1, vcc_lo, s3, v1, vcc_lo
	global_load_b128 v[48:51], v[0:1], off
	v_add_co_u32 v0, vcc_lo, v0, s2
	s_wait_alu 0xfffd
	v_add_co_ci_u32_e32 v1, vcc_lo, s3, v1, vcc_lo
	;; [unrolled: 4-line block ×4, first 2 shown]
	s_mov_b32 s2, 0x4755a5e
	s_mov_b32 s3, 0x3fe2cf23
	s_wait_alu 0xfffe
	s_mov_b32 s12, s2
	s_wait_loadcnt 0xb
	scratch_store_b128 off, v[6:9], off offset:32 ; 16-byte Folded Spill
	s_wait_loadcnt 0xa
	v_mul_f64_e32 v[2:3], v[18:19], v[8:9]
	v_mul_f64_e32 v[4:5], v[16:17], v[8:9]
	s_delay_alu instid0(VALU_DEP_2) | instskip(NEXT) | instid1(VALU_DEP_2)
	v_fma_f64 v[73:74], v[16:17], v[6:7], v[2:3]
	v_fma_f64 v[75:76], v[18:19], v[6:7], -v[4:5]
	global_load_b128 v[6:9], v183, s[8:9] offset:4800
	s_wait_loadcnt 0x0
	v_mul_f64_e32 v[2:3], v[22:23], v[8:9]
	v_mul_f64_e32 v[4:5], v[20:21], v[8:9]
	scratch_store_b128 off, v[6:9], off offset:48 ; 16-byte Folded Spill
	v_fma_f64 v[77:78], v[20:21], v[6:7], v[2:3]
	v_fma_f64 v[79:80], v[22:23], v[6:7], -v[4:5]
	global_load_b128 v[6:9], v183, s[8:9] offset:400
	s_wait_loadcnt 0x0
	v_mul_f64_e32 v[2:3], v[26:27], v[8:9]
	v_mul_f64_e32 v[4:5], v[24:25], v[8:9]
	scratch_store_b128 off, v[6:9], off offset:64 ; 16-byte Folded Spill
	;; [unrolled: 7-line block ×10, first 2 shown]
	v_fma_f64 v[113:114], v[56:57], v[6:7], v[2:3]
	v_fma_f64 v[115:116], v[58:59], v[6:7], -v[4:5]
	global_load_b128 v[117:120], v[0:1], off
	global_load_b128 v[4:7], v183, s[8:9] offset:5600
	s_wait_loadcnt 0x0
	v_mul_f64_e32 v[0:1], v[119:120], v[6:7]
	v_mul_f64_e32 v[2:3], v[117:118], v[6:7]
	scratch_store_b128 off, v[4:7], off offset:208 ; 16-byte Folded Spill
	v_fma_f64 v[117:118], v[117:118], v[4:5], v[0:1]
	v_mul_hi_u32 v0, 0xcccccccd, v180
	v_fma_f64 v[119:120], v[119:120], v[4:5], -v[2:3]
	s_delay_alu instid0(VALU_DEP_2) | instskip(NEXT) | instid1(VALU_DEP_1)
	v_lshrrev_b32_e32 v0, 2, v0
	v_lshl_add_u32 v0, v0, 2, v0
	s_delay_alu instid0(VALU_DEP_1) | instskip(NEXT) | instid1(VALU_DEP_1)
	v_sub_nc_u32_e32 v0, v180, v0
	v_mul_u32_u24_e32 v0, 0x177, v0
	s_delay_alu instid0(VALU_DEP_1) | instskip(NEXT) | instid1(VALU_DEP_1)
	v_lshlrev_b32_e32 v152, 4, v0
	v_add_nc_u32_e32 v182, v183, v152
	ds_store_b128 v182, v[60:63]
	ds_store_b128 v182, v[65:68] offset:1200
	ds_store_b128 v182, v[69:72] offset:2400
	;; [unrolled: 1-line block ×14, first 2 shown]
	s_load_b128 s[4:7], s[6:7], 0x0
	global_wb scope:SCOPE_SE
	s_wait_storecnt_dscnt 0x0
	s_wait_kmcnt 0x0
	s_barrier_signal -1
	s_barrier_wait -1
	global_inv scope:SCOPE_SE
	ds_load_b128 v[60:63], v182
	ds_load_b128 v[65:68], v182 offset:1200
	ds_load_b128 v[69:72], v182 offset:4800
	;; [unrolled: 1-line block ×3, first 2 shown]
	s_wait_dscnt 0x2
	v_add_f64_e32 v[0:1], v[60:61], v[65:66]
	v_add_f64_e32 v[2:3], v[62:63], v[67:68]
	s_wait_dscnt 0x1
	v_add_f64_e32 v[4:5], v[65:66], v[69:70]
	v_add_f64_e64 v[6:7], v[67:68], -v[71:72]
	v_add_f64_e32 v[8:9], v[67:68], v[71:72]
	s_wait_dscnt 0x0
	v_add_f64_e64 v[10:11], v[65:66], -v[73:74]
	v_add_f64_e64 v[12:13], v[73:74], -v[65:66]
	v_add_f64_e64 v[14:15], v[65:66], -v[69:70]
	v_add_f64_e64 v[16:17], v[67:68], -v[75:76]
	v_add_f64_e64 v[18:19], v[75:76], -v[67:68]
	ds_load_b128 v[65:68], v182 offset:3600
	s_wait_dscnt 0x0
	v_add_f64_e32 v[93:94], v[73:74], v[65:66]
	v_add_f64_e32 v[95:96], v[75:76], v[67:68]
	v_add_f64_e64 v[97:98], v[75:76], -v[67:68]
	v_add_f64_e64 v[99:100], v[73:74], -v[65:66]
	;; [unrolled: 1-line block ×6, first 2 shown]
	v_add_f64_e32 v[0:1], v[0:1], v[73:74]
	v_add_f64_e32 v[2:3], v[2:3], v[75:76]
	v_fma_f64 v[8:9], v[8:9], -0.5, v[62:63]
	v_add_f64_e32 v[10:11], v[10:11], v[101:102]
	v_add_f64_e32 v[16:17], v[16:17], v[105:106]
	;; [unrolled: 1-line block ×4, first 2 shown]
	s_delay_alu instid0(VALU_DEP_2) | instskip(NEXT) | instid1(VALU_DEP_2)
	v_add_f64_e32 v[65:66], v[0:1], v[69:70]
	v_add_f64_e32 v[67:68], v[2:3], v[71:72]
	ds_load_b128 v[69:72], v182 offset:1600
	ds_load_b128 v[73:76], v182 offset:400
	;; [unrolled: 1-line block ×4, first 2 shown]
	s_wait_dscnt 0x2
	v_add_f64_e32 v[0:1], v[73:74], v[69:70]
	v_add_f64_e32 v[2:3], v[75:76], v[71:72]
	s_wait_dscnt 0x1
	v_add_f64_e32 v[109:110], v[69:70], v[77:78]
	v_add_f64_e32 v[111:112], v[71:72], v[79:80]
	v_add_f64_e64 v[113:114], v[71:72], -v[79:80]
	s_wait_dscnt 0x0
	v_add_f64_e64 v[115:116], v[69:70], -v[81:82]
	v_add_f64_e64 v[117:118], v[81:82], -v[69:70]
	;; [unrolled: 1-line block ×5, first 2 shown]
	ds_load_b128 v[69:72], v182 offset:4000
	s_wait_dscnt 0x0
	v_add_f64_e32 v[125:126], v[81:82], v[69:70]
	v_add_f64_e32 v[127:128], v[83:84], v[71:72]
	v_add_f64_e64 v[129:130], v[83:84], -v[71:72]
	v_add_f64_e64 v[131:132], v[81:82], -v[69:70]
	;; [unrolled: 1-line block ×6, first 2 shown]
	v_add_f64_e32 v[0:1], v[0:1], v[81:82]
	v_add_f64_e32 v[2:3], v[2:3], v[83:84]
	v_fma_f64 v[109:110], v[109:110], -0.5, v[73:74]
	v_fma_f64 v[111:112], v[111:112], -0.5, v[75:76]
	s_delay_alu instid0(VALU_DEP_4) | instskip(NEXT) | instid1(VALU_DEP_4)
	v_add_f64_e32 v[0:1], v[0:1], v[69:70]
	v_add_f64_e32 v[2:3], v[2:3], v[71:72]
	s_delay_alu instid0(VALU_DEP_2) | instskip(NEXT) | instid1(VALU_DEP_2)
	v_add_f64_e32 v[69:70], v[0:1], v[77:78]
	v_add_f64_e32 v[71:72], v[2:3], v[79:80]
	ds_load_b128 v[77:80], v182 offset:2000
	ds_load_b128 v[81:84], v182 offset:800
	ds_load_b128 v[85:88], v182 offset:5600
	ds_load_b128 v[89:92], v182 offset:3200
	s_wait_dscnt 0x2
	v_add_f64_e32 v[2:3], v[83:84], v[79:80]
	v_add_f64_e32 v[0:1], v[81:82], v[77:78]
	s_wait_dscnt 0x1
	v_add_f64_e32 v[141:142], v[77:78], v[85:86]
	v_add_f64_e32 v[143:144], v[79:80], v[87:88]
	v_add_f64_e64 v[145:146], v[79:80], -v[87:88]
	s_wait_dscnt 0x0
	v_add_f64_e64 v[147:148], v[77:78], -v[89:90]
	v_add_f64_e64 v[149:150], v[89:90], -v[77:78]
	;; [unrolled: 1-line block ×5, first 2 shown]
	ds_load_b128 v[77:80], v182 offset:4400
	global_wb scope:SCOPE_SE
	s_wait_dscnt 0x0
	s_barrier_signal -1
	s_barrier_wait -1
	global_inv scope:SCOPE_SE
	v_add_f64_e32 v[161:162], v[91:92], v[79:80]
	v_add_f64_e64 v[163:164], v[91:92], -v[79:80]
	v_add_f64_e64 v[171:172], v[87:88], -v[79:80]
	;; [unrolled: 1-line block ×3, first 2 shown]
	v_add_f64_e32 v[159:160], v[89:90], v[77:78]
	v_add_f64_e64 v[165:166], v[89:90], -v[77:78]
	v_add_f64_e64 v[167:168], v[85:86], -v[77:78]
	;; [unrolled: 1-line block ×3, first 2 shown]
	v_add_f64_e32 v[2:3], v[2:3], v[91:92]
	v_add_f64_e32 v[0:1], v[0:1], v[89:90]
	v_fma_f64 v[143:144], v[143:144], -0.5, v[83:84]
	s_delay_alu instid0(VALU_DEP_3) | instskip(NEXT) | instid1(VALU_DEP_3)
	v_add_f64_e32 v[2:3], v[2:3], v[79:80]
	v_add_f64_e32 v[0:1], v[0:1], v[77:78]
	s_delay_alu instid0(VALU_DEP_2) | instskip(SKIP_2) | instid1(VALU_DEP_4)
	v_add_f64_e32 v[79:80], v[2:3], v[87:88]
	v_fma_f64 v[2:3], v[4:5], -0.5, v[60:61]
	v_fma_f64 v[4:5], v[95:96], -0.5, v[62:63]
	v_add_f64_e32 v[77:78], v[0:1], v[85:86]
	v_fma_f64 v[0:1], v[93:94], -0.5, v[60:61]
	v_fma_f64 v[95:96], v[127:128], -0.5, v[75:76]
	;; [unrolled: 1-line block ×6, first 2 shown]
	v_fma_f64 v[62:63], v[14:15], s[18:19], v[4:5]
	v_fma_f64 v[4:5], v[14:15], s[16:17], v[4:5]
	;; [unrolled: 1-line block ×4, first 2 shown]
	s_delay_alu instid0(VALU_DEP_4) | instskip(NEXT) | instid1(VALU_DEP_4)
	v_fma_f64 v[62:63], v[99:100], s[12:13], v[62:63]
	v_fma_f64 v[4:5], v[99:100], s[2:3], v[4:5]
	s_delay_alu instid0(VALU_DEP_4) | instskip(NEXT) | instid1(VALU_DEP_4)
	v_fma_f64 v[60:61], v[97:98], s[2:3], v[60:61]
	v_fma_f64 v[0:1], v[97:98], s[12:13], v[0:1]
	;; [unrolled: 3-line block ×3, first 2 shown]
	v_fma_f64 v[4:5], v[99:100], s[16:17], v[8:9]
	s_delay_alu instid0(VALU_DEP_4)
	v_fma_f64 v[73:74], v[10:11], s[14:15], v[0:1]
	v_fma_f64 v[0:1], v[97:98], s[18:19], v[2:3]
	;; [unrolled: 1-line block ×5, first 2 shown]
	v_add_f64_e32 v[10:11], v[12:13], v[103:104]
	v_add_f64_e32 v[12:13], v[18:19], v[107:108]
	v_fma_f64 v[4:5], v[14:15], s[12:13], v[4:5]
	v_fma_f64 v[0:1], v[6:7], s[2:3], v[0:1]
	;; [unrolled: 1-line block ×4, first 2 shown]
	v_add_f64_e32 v[8:9], v[117:118], v[135:136]
	v_fma_f64 v[83:84], v[12:13], s[14:15], v[4:5]
	v_fma_f64 v[4:5], v[113:114], s[16:17], v[93:94]
	;; [unrolled: 1-line block ×3, first 2 shown]
	v_add_f64_e32 v[0:1], v[115:116], v[133:134]
	v_fma_f64 v[87:88], v[12:13], s[14:15], v[6:7]
	v_fma_f64 v[6:7], v[119:120], s[18:19], v[95:96]
	;; [unrolled: 1-line block ×3, first 2 shown]
	v_add_f64_e32 v[2:3], v[121:122], v[137:138]
	v_add_f64_e32 v[10:11], v[123:124], v[139:140]
	v_fma_f64 v[4:5], v[129:130], s[2:3], v[4:5]
	v_fma_f64 v[6:7], v[131:132], s[12:13], v[6:7]
	s_delay_alu instid0(VALU_DEP_2) | instskip(SKIP_1) | instid1(VALU_DEP_3)
	v_fma_f64 v[89:90], v[0:1], s[14:15], v[4:5]
	v_fma_f64 v[4:5], v[113:114], s[18:19], v[93:94]
	;; [unrolled: 1-line block ×4, first 2 shown]
	s_delay_alu instid0(VALU_DEP_3) | instskip(NEXT) | instid1(VALU_DEP_2)
	v_fma_f64 v[4:5], v[129:130], s[12:13], v[4:5]
	v_fma_f64 v[6:7], v[131:132], s[2:3], v[6:7]
	s_delay_alu instid0(VALU_DEP_2) | instskip(SKIP_2) | instid1(VALU_DEP_4)
	v_fma_f64 v[93:94], v[0:1], s[14:15], v[4:5]
	v_fma_f64 v[4:5], v[131:132], s[16:17], v[111:112]
	;; [unrolled: 1-line block ×8, first 2 shown]
	s_delay_alu instid0(VALU_DEP_4) | instskip(NEXT) | instid1(VALU_DEP_4)
	v_fma_f64 v[6:7], v[119:120], s[2:3], v[6:7]
	v_fma_f64 v[2:3], v[113:114], s[12:13], v[2:3]
	s_delay_alu instid0(VALU_DEP_4)
	v_fma_f64 v[99:100], v[10:11], s[14:15], v[4:5]
	v_fma_f64 v[4:5], v[163:164], s[18:19], v[127:128]
	;; [unrolled: 1-line block ×3, first 2 shown]
	v_add_f64_e32 v[0:1], v[149:150], v[169:170]
	v_fma_f64 v[103:104], v[10:11], s[14:15], v[6:7]
	v_fma_f64 v[6:7], v[165:166], s[16:17], v[143:144]
	;; [unrolled: 1-line block ×3, first 2 shown]
	v_add_f64_e32 v[2:3], v[157:158], v[173:174]
	v_add_f64_e32 v[8:9], v[147:148], v[167:168]
	v_add_f64_e32 v[10:11], v[155:156], v[171:172]
	v_add_co_u32 v156, null, v151, 50
	s_delay_alu instid0(VALU_DEP_1) | instskip(SKIP_2) | instid1(VALU_DEP_2)
	v_and_b32_e32 v124, 0xff, v156
	v_fma_f64 v[4:5], v[145:146], s[2:3], v[4:5]
	v_fma_f64 v[6:7], v[153:154], s[12:13], v[6:7]
	;; [unrolled: 1-line block ×4, first 2 shown]
	s_delay_alu instid0(VALU_DEP_3) | instskip(SKIP_1) | instid1(VALU_DEP_3)
	v_fma_f64 v[107:108], v[2:3], s[14:15], v[6:7]
	v_fma_f64 v[6:7], v[165:166], s[18:19], v[143:144]
	;; [unrolled: 1-line block ×3, first 2 shown]
	s_delay_alu instid0(VALU_DEP_2) | instskip(NEXT) | instid1(VALU_DEP_2)
	v_fma_f64 v[6:7], v[153:154], s[2:3], v[6:7]
	v_fma_f64 v[109:110], v[0:1], s[14:15], v[4:5]
	;; [unrolled: 1-line block ×4, first 2 shown]
	s_delay_alu instid0(VALU_DEP_4) | instskip(SKIP_3) | instid1(VALU_DEP_1)
	v_fma_f64 v[111:112], v[2:3], s[14:15], v[6:7]
	v_fma_f64 v[2:3], v[145:146], s[18:19], v[125:126]
	v_fma_f64 v[6:7], v[153:154], s[16:17], v[141:142]
	v_add_co_u32 v153, null, v151, 25
	v_and_b32_e32 v16, 0xff, v153
	s_delay_alu instid0(VALU_DEP_1) | instskip(NEXT) | instid1(VALU_DEP_1)
	v_mul_lo_u16 v16, 0xcd, v16
	v_lshrrev_b16 v125, 10, v16
	s_delay_alu instid0(VALU_DEP_1) | instskip(NEXT) | instid1(VALU_DEP_1)
	v_mul_lo_u16 v16, v125, 5
	v_sub_nc_u16 v16, v153, v16
	s_delay_alu instid0(VALU_DEP_1) | instskip(SKIP_2) | instid1(VALU_DEP_3)
	v_and_b32_e32 v126, 0xff, v16
	v_fma_f64 v[0:1], v[163:164], s[2:3], v[0:1]
	v_fma_f64 v[4:5], v[165:166], s[12:13], v[4:5]
	v_lshlrev_b32_e32 v16, 6, v126
	v_fma_f64 v[2:3], v[163:164], s[12:13], v[2:3]
	v_fma_f64 v[6:7], v[165:166], s[2:3], v[6:7]
	;; [unrolled: 1-line block ×3, first 2 shown]
	v_mul_lo_u16 v0, v64, 5
	v_fma_f64 v[115:116], v[10:11], s[14:15], v[4:5]
	v_fma_f64 v[117:118], v[8:9], s[14:15], v[2:3]
	;; [unrolled: 1-line block ×3, first 2 shown]
	s_delay_alu instid0(VALU_DEP_4) | instskip(NEXT) | instid1(VALU_DEP_1)
	v_and_b32_e32 v0, 0xffff, v0
	v_lshl_add_u32 v22, v0, 4, v152
	v_mul_u32_u24_e32 v0, 5, v153
	ds_store_b128 v22, v[65:68]
	ds_store_b128 v22, v[60:63] offset:16
	ds_store_b128 v22, v[81:84] offset:32
	;; [unrolled: 1-line block ×4, first 2 shown]
	v_lshl_add_u32 v61, v0, 4, v152
	v_mul_u32_u24_e32 v0, 5, v156
	ds_store_b128 v61, v[69:72]
	ds_store_b128 v61, v[89:92] offset:16
	ds_store_b128 v61, v[97:100] offset:32
	;; [unrolled: 1-line block ×4, first 2 shown]
	v_lshl_add_u32 v255, v0, 4, v152
	v_and_b32_e32 v0, 0xff, v64
	ds_store_b128 v255, v[77:80]
	ds_store_b128 v255, v[113:116] offset:16
	ds_store_b128 v255, v[105:108] offset:32
	;; [unrolled: 1-line block ×4, first 2 shown]
	v_mul_lo_u16 v0, 0xcd, v0
	global_wb scope:SCOPE_SE
	s_wait_dscnt 0x0
	s_barrier_signal -1
	s_barrier_wait -1
	global_inv scope:SCOPE_SE
	v_lshrrev_b16 v129, 10, v0
	s_clause 0x1
	global_load_b128 v[76:79], v16, s[10:11]
	global_load_b128 v[17:20], v16, s[10:11] offset:16
	ds_load_b128 v[96:99], v182 offset:2000
	ds_load_b128 v[131:134], v182 offset:5600
	v_mul_lo_u16 v0, v129, 5
	s_delay_alu instid0(VALU_DEP_1) | instskip(SKIP_2) | instid1(VALU_DEP_1)
	v_sub_nc_u16 v130, v64, v0
	ds_load_b128 v[64:67], v182 offset:1200
	v_lshlrev_b16 v0, 2, v130
	v_and_b32_e32 v0, 0xfc, v0
	s_delay_alu instid0(VALU_DEP_1)
	v_lshlrev_b32_e32 v12, 4, v0
	s_clause 0x3
	global_load_b128 v[2:5], v12, s[10:11]
	global_load_b128 v[108:111], v12, s[10:11] offset:16
	global_load_b128 v[92:95], v12, s[10:11] offset:32
	;; [unrolled: 1-line block ×3, first 2 shown]
	s_wait_loadcnt 0x4
	scratch_store_b128 off, v[17:20], off offset:244 ; 16-byte Folded Spill
	s_wait_loadcnt_dscnt 0x300
	v_mul_f64_e32 v[0:1], v[66:67], v[4:5]
	v_mov_b32_e32 v7, v5
	v_dual_mov_b32 v6, v4 :: v_dual_mov_b32 v5, v3
	v_mov_b32_e32 v4, v2
	s_delay_alu instid0(VALU_DEP_2)
	v_mul_f64_e32 v[2:3], v[64:65], v[6:7]
	scratch_store_b128 off, v[4:7], off offset:260 ; 16-byte Folded Spill
	v_fma_f64 v[0:1], v[64:65], v[4:5], -v[0:1]
	v_fma_f64 v[2:3], v[66:67], v[4:5], v[2:3]
	ds_load_b128 v[64:67], v182 offset:2400
	s_wait_loadcnt_dscnt 0x200
	v_mul_f64_e32 v[4:5], v[66:67], v[110:111]
	v_mul_f64_e32 v[6:7], v[64:65], v[110:111]
	s_delay_alu instid0(VALU_DEP_2) | instskip(NEXT) | instid1(VALU_DEP_2)
	v_fma_f64 v[4:5], v[64:65], v[108:109], -v[4:5]
	v_fma_f64 v[6:7], v[66:67], v[108:109], v[6:7]
	ds_load_b128 v[64:67], v182 offset:3600
	s_wait_loadcnt_dscnt 0x100
	v_mul_f64_e32 v[8:9], v[66:67], v[94:95]
	v_mul_f64_e32 v[10:11], v[64:65], v[94:95]
	s_delay_alu instid0(VALU_DEP_2) | instskip(NEXT) | instid1(VALU_DEP_2)
	v_fma_f64 v[8:9], v[64:65], v[92:93], -v[8:9]
	v_fma_f64 v[10:11], v[66:67], v[92:93], v[10:11]
	ds_load_b128 v[64:67], v182 offset:4800
	s_wait_loadcnt_dscnt 0x0
	v_mul_f64_e32 v[12:13], v[66:67], v[82:83]
	v_mul_f64_e32 v[14:15], v[64:65], v[82:83]
	v_add_f64_e32 v[135:136], v[4:5], v[8:9]
	v_add_f64_e64 v[149:150], v[6:7], -v[10:11]
	v_add_f64_e64 v[159:160], v[4:5], -v[8:9]
	v_fma_f64 v[12:13], v[64:65], v[80:81], -v[12:13]
	v_fma_f64 v[14:15], v[66:67], v[80:81], v[14:15]
	ds_load_b128 v[64:67], v182 offset:1600
	s_wait_dscnt 0x0
	v_mul_f64_e32 v[68:69], v[66:67], v[78:79]
	v_add_f64_e64 v[157:158], v[0:1], -v[12:13]
	v_add_f64_e64 v[147:148], v[2:3], -v[14:15]
	s_delay_alu instid0(VALU_DEP_3) | instskip(SKIP_4) | instid1(VALU_DEP_2)
	v_fma_f64 v[154:155], v[64:65], v[76:77], -v[68:69]
	ds_load_b128 v[68:71], v182 offset:2800
	v_mul_f64_e32 v[64:65], v[64:65], v[78:79]
	s_wait_dscnt 0x0
	v_mul_f64_e32 v[72:73], v[70:71], v[19:20]
	v_fma_f64 v[169:170], v[66:67], v[76:77], v[64:65]
	s_delay_alu instid0(VALU_DEP_2)
	v_fma_f64 v[171:172], v[68:69], v[17:18], -v[72:73]
	v_mul_f64_e32 v[68:69], v[68:69], v[19:20]
	ds_load_b128 v[72:75], v182 offset:4000
	v_fma_f64 v[173:174], v[70:71], v[17:18], v[68:69]
	global_load_b128 v[68:71], v16, s[10:11] offset:32
	v_mov_b32_e32 v17, v151
	s_wait_loadcnt_dscnt 0x0
	v_mul_f64_e32 v[84:85], v[74:75], v[70:71]
	s_delay_alu instid0(VALU_DEP_1)
	v_fma_f64 v[175:176], v[72:73], v[68:69], -v[84:85]
	v_mul_f64_e32 v[72:73], v[72:73], v[70:71]
	ds_load_b128 v[84:87], v182 offset:5200
	v_add_f64_e64 v[188:189], v[171:172], -v[175:176]
	v_fma_f64 v[177:178], v[74:75], v[68:69], v[72:73]
	global_load_b128 v[72:75], v16, s[10:11] offset:48
	v_mul_lo_u16 v16, 0xcd, v124
	s_delay_alu instid0(VALU_DEP_1) | instskip(NEXT) | instid1(VALU_DEP_1)
	v_lshrrev_b16 v127, 10, v16
	v_mul_lo_u16 v16, v127, 5
	s_delay_alu instid0(VALU_DEP_1) | instskip(NEXT) | instid1(VALU_DEP_1)
	v_sub_nc_u16 v16, v156, v16
	v_and_b32_e32 v128, 0xff, v16
	s_delay_alu instid0(VALU_DEP_1) | instskip(SKIP_3) | instid1(VALU_DEP_1)
	v_lshlrev_b32_e32 v16, 6, v128
	global_load_b128 v[100:103], v16, s[10:11] offset:16
	s_wait_loadcnt_dscnt 0x100
	v_mul_f64_e32 v[88:89], v[86:87], v[74:75]
	v_fma_f64 v[184:185], v[84:85], v[72:73], -v[88:89]
	global_load_b128 v[88:91], v16, s[10:11]
	v_mul_f64_e32 v[84:85], v[84:85], v[74:75]
	s_delay_alu instid0(VALU_DEP_1) | instskip(SKIP_2) | instid1(VALU_DEP_1)
	v_fma_f64 v[186:187], v[86:87], v[72:73], v[84:85]
	s_wait_loadcnt 0x0
	v_mul_f64_e32 v[84:85], v[98:99], v[90:91]
	v_fma_f64 v[86:87], v[96:97], v[88:89], -v[84:85]
	v_mul_f64_e32 v[84:85], v[96:97], v[90:91]
	s_delay_alu instid0(VALU_DEP_1) | instskip(SKIP_3) | instid1(VALU_DEP_1)
	v_fma_f64 v[84:85], v[98:99], v[88:89], v[84:85]
	ds_load_b128 v[96:99], v182 offset:3200
	s_wait_dscnt 0x0
	v_mul_f64_e32 v[104:105], v[98:99], v[102:103]
	v_fma_f64 v[112:113], v[96:97], v[100:101], -v[104:105]
	v_mul_f64_e32 v[96:97], v[96:97], v[102:103]
	ds_load_b128 v[104:107], v182 offset:4400
	v_fma_f64 v[114:115], v[98:99], v[100:101], v[96:97]
	global_load_b128 v[96:99], v16, s[10:11] offset:32
	s_wait_loadcnt_dscnt 0x0
	v_mul_f64_e32 v[116:117], v[106:107], v[98:99]
	s_delay_alu instid0(VALU_DEP_1) | instskip(SKIP_1) | instid1(VALU_DEP_1)
	v_fma_f64 v[116:117], v[104:105], v[96:97], -v[116:117]
	v_mul_f64_e32 v[104:105], v[104:105], v[98:99]
	v_fma_f64 v[118:119], v[106:107], v[96:97], v[104:105]
	global_load_b128 v[104:107], v16, s[10:11] offset:48
	v_mul_lo_u16 v16, v124, 41
	s_delay_alu instid0(VALU_DEP_1) | instskip(NEXT) | instid1(VALU_DEP_1)
	v_lshrrev_b16 v16, 10, v16
	v_mul_lo_u16 v16, v16, 25
	s_delay_alu instid0(VALU_DEP_1) | instskip(SKIP_3) | instid1(VALU_DEP_2)
	v_sub_nc_u16 v16, v156, v16
	s_wait_loadcnt 0x0
	v_mul_f64_e32 v[120:121], v[133:134], v[106:107]
	v_mul_f64_e32 v[122:123], v[131:132], v[106:107]
	v_fma_f64 v[120:121], v[131:132], v[104:105], -v[120:121]
	s_delay_alu instid0(VALU_DEP_2) | instskip(SKIP_2) | instid1(VALU_DEP_1)
	v_fma_f64 v[122:123], v[133:134], v[104:105], v[122:123]
	v_add_f64_e64 v[131:132], v[0:1], -v[4:5]
	v_add_f64_e64 v[133:134], v[12:13], -v[8:9]
	v_add_f64_e32 v[139:140], v[131:132], v[133:134]
	v_add_f64_e64 v[131:132], v[2:3], -v[6:7]
	v_add_f64_e64 v[133:134], v[14:15], -v[10:11]
	s_delay_alu instid0(VALU_DEP_1) | instskip(SKIP_4) | instid1(VALU_DEP_1)
	v_add_f64_e32 v[141:142], v[131:132], v[133:134]
	ds_load_b128 v[131:134], v182
	s_wait_dscnt 0x0
	v_fma_f64 v[143:144], v[135:136], -0.5, v[131:132]
	v_add_f64_e32 v[135:136], v[6:7], v[10:11]
	v_fma_f64 v[145:146], v[135:136], -0.5, v[133:134]
	s_delay_alu instid0(VALU_DEP_3) | instskip(SKIP_1) | instid1(VALU_DEP_3)
	v_fma_f64 v[135:136], v[147:148], s[16:17], v[143:144]
	v_fma_f64 v[143:144], v[147:148], s[18:19], v[143:144]
	;; [unrolled: 1-line block ×4, first 2 shown]
	s_delay_alu instid0(VALU_DEP_4) | instskip(NEXT) | instid1(VALU_DEP_4)
	v_fma_f64 v[135:136], v[149:150], s[2:3], v[135:136]
	v_fma_f64 v[143:144], v[149:150], s[12:13], v[143:144]
	s_delay_alu instid0(VALU_DEP_4) | instskip(NEXT) | instid1(VALU_DEP_4)
	v_fma_f64 v[137:138], v[159:160], s[12:13], v[137:138]
	v_fma_f64 v[145:146], v[159:160], s[2:3], v[145:146]
	;; [unrolled: 3-line block ×3, first 2 shown]
	v_add_f64_e32 v[143:144], v[0:1], v[12:13]
	v_fma_f64 v[137:138], v[141:142], s[14:15], v[137:138]
	v_fma_f64 v[141:142], v[141:142], s[14:15], v[145:146]
	v_add_f64_e32 v[145:146], v[2:3], v[14:15]
	s_delay_alu instid0(VALU_DEP_4) | instskip(SKIP_2) | instid1(VALU_DEP_4)
	v_fma_f64 v[143:144], v[143:144], -0.5, v[131:132]
	v_add_f64_e32 v[131:132], v[131:132], v[0:1]
	v_add_f64_e64 v[0:1], v[4:5], -v[0:1]
	v_fma_f64 v[145:146], v[145:146], -0.5, v[133:134]
	v_add_f64_e32 v[133:134], v[133:134], v[2:3]
	v_add_f64_e64 v[2:3], v[6:7], -v[2:3]
	v_add_f64_e32 v[4:5], v[131:132], v[4:5]
	s_delay_alu instid0(VALU_DEP_3) | instskip(NEXT) | instid1(VALU_DEP_2)
	v_add_f64_e32 v[131:132], v[133:134], v[6:7]
	v_add_f64_e32 v[4:5], v[4:5], v[8:9]
	v_add_f64_e64 v[8:9], v[8:9], -v[12:13]
	s_delay_alu instid0(VALU_DEP_3) | instskip(NEXT) | instid1(VALU_DEP_3)
	v_add_f64_e32 v[6:7], v[131:132], v[10:11]
	v_add_f64_e32 v[131:132], v[4:5], v[12:13]
	v_add_f64_e64 v[4:5], v[10:11], -v[14:15]
	v_fma_f64 v[10:11], v[149:150], s[16:17], v[143:144]
	v_fma_f64 v[12:13], v[159:160], s[16:17], v[145:146]
	v_add_f64_e32 v[0:1], v[0:1], v[8:9]
	v_add_f64_e32 v[133:134], v[6:7], v[14:15]
	v_fma_f64 v[6:7], v[149:150], s[18:19], v[143:144]
	v_fma_f64 v[14:15], v[159:160], s[18:19], v[145:146]
	v_add_f64_e32 v[2:3], v[2:3], v[4:5]
	v_fma_f64 v[8:9], v[157:158], s[12:13], v[12:13]
	s_delay_alu instid0(VALU_DEP_4)
	v_fma_f64 v[4:5], v[147:148], s[2:3], v[6:7]
	v_fma_f64 v[6:7], v[147:148], s[12:13], v[10:11]
	;; [unrolled: 1-line block ×3, first 2 shown]
	ds_load_b128 v[157:160], v182 offset:400
	v_fma_f64 v[145:146], v[2:3], s[14:15], v[8:9]
	v_add_f64_e64 v[8:9], v[169:170], -v[186:187]
	v_add_f64_e64 v[14:15], v[154:155], -v[184:185]
	v_fma_f64 v[143:144], v[0:1], s[14:15], v[4:5]
	v_fma_f64 v[147:148], v[0:1], s[14:15], v[6:7]
	;; [unrolled: 1-line block ×3, first 2 shown]
	v_add_f64_e64 v[0:1], v[154:155], -v[171:172]
	v_add_f64_e64 v[2:3], v[184:185], -v[175:176]
	;; [unrolled: 1-line block ×3, first 2 shown]
	v_add_f64_e32 v[6:7], v[173:174], v[177:178]
	v_add_f64_e64 v[10:11], v[173:174], -v[177:178]
	s_delay_alu instid0(VALU_DEP_4) | instskip(SKIP_2) | instid1(VALU_DEP_4)
	v_add_f64_e32 v[0:1], v[0:1], v[2:3]
	v_add_f64_e64 v[2:3], v[169:170], -v[173:174]
	s_wait_dscnt 0x0
	v_fma_f64 v[6:7], v[6:7], -0.5, v[159:160]
	s_delay_alu instid0(VALU_DEP_2) | instskip(SKIP_1) | instid1(VALU_DEP_3)
	v_add_f64_e32 v[2:3], v[2:3], v[4:5]
	v_add_f64_e32 v[4:5], v[171:172], v[175:176]
	v_fma_f64 v[161:162], v[14:15], s[18:19], v[6:7]
	v_fma_f64 v[6:7], v[14:15], s[16:17], v[6:7]
	s_delay_alu instid0(VALU_DEP_3) | instskip(NEXT) | instid1(VALU_DEP_3)
	v_fma_f64 v[4:5], v[4:5], -0.5, v[157:158]
	v_fma_f64 v[163:164], v[188:189], s[12:13], v[161:162]
	s_delay_alu instid0(VALU_DEP_3) | instskip(NEXT) | instid1(VALU_DEP_3)
	v_fma_f64 v[6:7], v[188:189], s[2:3], v[6:7]
	v_fma_f64 v[12:13], v[8:9], s[16:17], v[4:5]
	;; [unrolled: 1-line block ×3, first 2 shown]
	s_delay_alu instid0(VALU_DEP_3)
	v_fma_f64 v[167:168], v[2:3], s[14:15], v[6:7]
	v_add_f64_e32 v[6:7], v[159:160], v[169:170]
	v_fma_f64 v[163:164], v[2:3], s[14:15], v[163:164]
	v_add_f64_e32 v[2:3], v[169:170], v[186:187]
	v_fma_f64 v[12:13], v[10:11], s[2:3], v[12:13]
	v_fma_f64 v[4:5], v[10:11], s[12:13], v[4:5]
	v_add_f64_e32 v[6:7], v[6:7], v[173:174]
	s_delay_alu instid0(VALU_DEP_4) | instskip(NEXT) | instid1(VALU_DEP_4)
	v_fma_f64 v[2:3], v[2:3], -0.5, v[159:160]
	v_fma_f64 v[161:162], v[0:1], s[14:15], v[12:13]
	s_delay_alu instid0(VALU_DEP_4)
	v_fma_f64 v[165:166], v[0:1], s[14:15], v[4:5]
	v_add_f64_e32 v[4:5], v[157:158], v[154:155]
	v_add_f64_e32 v[0:1], v[154:155], v[184:185]
	;; [unrolled: 1-line block ×3, first 2 shown]
	v_add_f64_e64 v[12:13], v[171:172], -v[154:155]
	v_add_f64_e64 v[154:155], v[173:174], -v[169:170]
	;; [unrolled: 1-line block ×3, first 2 shown]
	v_add_f64_e32 v[4:5], v[4:5], v[171:172]
	v_fma_f64 v[0:1], v[0:1], -0.5, v[157:158]
	v_add_f64_e32 v[159:160], v[6:7], v[186:187]
	s_delay_alu instid0(VALU_DEP_4) | instskip(NEXT) | instid1(VALU_DEP_4)
	v_add_f64_e32 v[12:13], v[12:13], v[169:170]
	v_add_f64_e32 v[4:5], v[4:5], v[175:176]
	s_delay_alu instid0(VALU_DEP_4)
	v_fma_f64 v[6:7], v[10:11], s[18:19], v[0:1]
	v_fma_f64 v[0:1], v[10:11], s[16:17], v[0:1]
	;; [unrolled: 1-line block ×4, first 2 shown]
	ds_load_b128 v[188:191], v182 offset:800
	global_wb scope:SCOPE_SE
	s_wait_storecnt_dscnt 0x0
	s_barrier_signal -1
	s_barrier_wait -1
	global_inv scope:SCOPE_SE
	v_add_f64_e32 v[157:158], v[4:5], v[184:185]
	v_add_f64_e64 v[4:5], v[177:178], -v[186:187]
	v_fma_f64 v[0:1], v[8:9], s[12:13], v[0:1]
	v_fma_f64 v[6:7], v[8:9], s[2:3], v[6:7]
	;; [unrolled: 1-line block ×4, first 2 shown]
	v_add_f64_e64 v[14:15], v[112:113], -v[116:117]
	v_add_f64_e64 v[10:11], v[84:85], -v[122:123]
	v_add_f64_e32 v[4:5], v[154:155], v[4:5]
	v_fma_f64 v[173:174], v[12:13], s[14:15], v[0:1]
	v_add_f64_e64 v[0:1], v[112:113], -v[86:87]
	v_fma_f64 v[169:170], v[12:13], s[14:15], v[6:7]
	v_add_f64_e32 v[6:7], v[84:85], v[122:123]
	v_add_f64_e64 v[154:155], v[86:87], -v[120:121]
	v_fma_f64 v[175:176], v[4:5], s[14:15], v[2:3]
	v_add_f64_e64 v[2:3], v[116:117], -v[120:121]
	v_fma_f64 v[171:172], v[4:5], s[14:15], v[8:9]
	v_add_f64_e64 v[4:5], v[118:119], -v[122:123]
	v_fma_f64 v[6:7], v[6:7], -0.5, v[190:191]
	v_add_f64_e64 v[8:9], v[114:115], -v[118:119]
	v_add_f64_e32 v[0:1], v[0:1], v[2:3]
	v_add_f64_e64 v[2:3], v[114:115], -v[84:85]
	s_delay_alu instid0(VALU_DEP_4) | instskip(SKIP_1) | instid1(VALU_DEP_3)
	v_fma_f64 v[177:178], v[14:15], s[16:17], v[6:7]
	v_fma_f64 v[6:7], v[14:15], s[18:19], v[6:7]
	v_add_f64_e32 v[2:3], v[2:3], v[4:5]
	v_add_f64_e32 v[4:5], v[86:87], v[120:121]
	s_delay_alu instid0(VALU_DEP_4) | instskip(NEXT) | instid1(VALU_DEP_4)
	v_fma_f64 v[177:178], v[154:155], s[12:13], v[177:178]
	v_fma_f64 v[6:7], v[154:155], s[2:3], v[6:7]
	s_delay_alu instid0(VALU_DEP_3) | instskip(NEXT) | instid1(VALU_DEP_3)
	v_fma_f64 v[4:5], v[4:5], -0.5, v[188:189]
	v_fma_f64 v[194:195], v[2:3], s[14:15], v[177:178]
	s_delay_alu instid0(VALU_DEP_3) | instskip(SKIP_4) | instid1(VALU_DEP_4)
	v_fma_f64 v[198:199], v[2:3], s[14:15], v[6:7]
	v_add_f64_e32 v[6:7], v[190:191], v[84:85]
	v_add_f64_e32 v[2:3], v[114:115], v[118:119]
	v_fma_f64 v[12:13], v[8:9], s[18:19], v[4:5]
	v_fma_f64 v[4:5], v[8:9], s[16:17], v[4:5]
	v_add_f64_e32 v[6:7], v[6:7], v[114:115]
	s_delay_alu instid0(VALU_DEP_4) | instskip(NEXT) | instid1(VALU_DEP_4)
	v_fma_f64 v[2:3], v[2:3], -0.5, v[190:191]
	v_fma_f64 v[12:13], v[10:11], s[2:3], v[12:13]
	s_delay_alu instid0(VALU_DEP_4) | instskip(NEXT) | instid1(VALU_DEP_4)
	v_fma_f64 v[4:5], v[10:11], s[12:13], v[4:5]
	v_add_f64_e32 v[6:7], v[6:7], v[118:119]
	s_delay_alu instid0(VALU_DEP_3) | instskip(NEXT) | instid1(VALU_DEP_3)
	v_fma_f64 v[192:193], v[0:1], s[14:15], v[12:13]
	v_fma_f64 v[196:197], v[0:1], s[14:15], v[4:5]
	v_add_f64_e32 v[4:5], v[188:189], v[86:87]
	v_add_f64_e32 v[0:1], v[112:113], v[116:117]
	v_add_f64_e64 v[12:13], v[86:87], -v[112:113]
	v_add_f64_e32 v[86:87], v[6:7], v[122:123]
	s_delay_alu instid0(VALU_DEP_4) | instskip(NEXT) | instid1(VALU_DEP_4)
	v_add_f64_e32 v[4:5], v[4:5], v[112:113]
	v_fma_f64 v[0:1], v[0:1], -0.5, v[188:189]
	v_add_f64_e64 v[112:113], v[84:85], -v[114:115]
	v_add_f64_e64 v[114:115], v[120:121], -v[116:117]
	s_delay_alu instid0(VALU_DEP_4) | instskip(NEXT) | instid1(VALU_DEP_4)
	v_add_f64_e32 v[4:5], v[4:5], v[116:117]
	v_fma_f64 v[6:7], v[10:11], s[16:17], v[0:1]
	v_fma_f64 v[0:1], v[10:11], s[18:19], v[0:1]
	v_fma_f64 v[10:11], v[154:155], s[18:19], v[2:3]
	v_fma_f64 v[2:3], v[154:155], s[16:17], v[2:3]
	v_add_f64_e32 v[12:13], v[12:13], v[114:115]
	v_and_b32_e32 v154, 0xff, v16
	s_delay_alu instid0(VALU_DEP_1)
	v_lshlrev_b32_e32 v16, 6, v154
	v_lshl_add_u32 v181, v154, 4, v152
	v_add_f64_e32 v[84:85], v[4:5], v[120:121]
	v_add_f64_e64 v[4:5], v[122:123], -v[118:119]
	v_fma_f64 v[0:1], v[8:9], s[12:13], v[0:1]
	v_fma_f64 v[6:7], v[8:9], s[2:3], v[6:7]
	;; [unrolled: 1-line block ×4, first 2 shown]
	v_add_f64_e32 v[4:5], v[112:113], v[4:5]
	v_fma_f64 v[116:117], v[12:13], s[14:15], v[0:1]
	v_mad_u16 v0, v129, 25, v130
	v_fma_f64 v[112:113], v[12:13], s[14:15], v[6:7]
	v_lshlrev_b32_e32 v12, 6, v17
	s_delay_alu instid0(VALU_DEP_3) | instskip(NEXT) | instid1(VALU_DEP_1)
	v_and_b32_e32 v0, 0xff, v0
	v_lshl_add_u32 v190, v0, 4, v152
	v_and_b32_e32 v0, 0xffff, v125
	ds_store_b128 v190, v[131:134]
	ds_store_b128 v190, v[135:138] offset:80
	ds_store_b128 v190, v[143:146] offset:160
	;; [unrolled: 1-line block ×4, first 2 shown]
	v_mul_u32_u24_e32 v0, 25, v0
	s_delay_alu instid0(VALU_DEP_1) | instskip(NEXT) | instid1(VALU_DEP_1)
	v_add_nc_u32_e32 v0, v0, v126
	v_lshl_add_u32 v189, v0, 4, v152
	v_and_b32_e32 v0, 0xffff, v127
	ds_store_b128 v189, v[157:160]
	ds_store_b128 v189, v[161:164] offset:80
	ds_store_b128 v189, v[169:172] offset:160
	;; [unrolled: 1-line block ×4, first 2 shown]
	v_mul_u32_u24_e32 v0, 25, v0
	v_fma_f64 v[114:115], v[4:5], s[14:15], v[8:9]
	v_fma_f64 v[118:119], v[4:5], s[14:15], v[2:3]
	s_delay_alu instid0(VALU_DEP_3) | instskip(NEXT) | instid1(VALU_DEP_1)
	v_add_nc_u32_e32 v0, v0, v128
	v_lshl_add_u32 v188, v0, 4, v152
	ds_store_b128 v188, v[84:87]
	ds_store_b128 v188, v[112:115] offset:80
	ds_store_b128 v188, v[192:195] offset:160
	;; [unrolled: 1-line block ×4, first 2 shown]
	global_wb scope:SCOPE_SE
	s_wait_dscnt 0x0
	s_barrier_signal -1
	s_barrier_wait -1
	global_inv scope:SCOPE_SE
	s_clause 0x3
	global_load_b128 v[84:87], v12, s[10:11] offset:320
	global_load_b128 v[120:123], v12, s[10:11] offset:336
	;; [unrolled: 1-line block ×4, first 2 shown]
	ds_load_b128 v[112:115], v182 offset:1200
	ds_load_b128 v[132:135], v182 offset:3200
	scratch_store_b32 off, v17, off offset:240 ; 4-byte Folded Spill
	ds_load_b128 v[125:128], v182 offset:4800
	ds_load_b128 v[157:160], v182 offset:5600
	s_wait_loadcnt_dscnt 0x303
	v_mul_f64_e32 v[0:1], v[114:115], v[86:87]
	v_mul_f64_e32 v[2:3], v[112:113], v[86:87]
	s_delay_alu instid0(VALU_DEP_2) | instskip(NEXT) | instid1(VALU_DEP_2)
	v_fma_f64 v[0:1], v[112:113], v[84:85], -v[0:1]
	v_fma_f64 v[2:3], v[114:115], v[84:85], v[2:3]
	ds_load_b128 v[112:115], v182 offset:2400
	s_wait_loadcnt_dscnt 0x200
	v_mul_f64_e32 v[4:5], v[114:115], v[122:123]
	v_mul_f64_e32 v[6:7], v[112:113], v[122:123]
	s_delay_alu instid0(VALU_DEP_2) | instskip(NEXT) | instid1(VALU_DEP_2)
	v_fma_f64 v[4:5], v[112:113], v[120:121], -v[4:5]
	v_fma_f64 v[6:7], v[114:115], v[120:121], v[6:7]
	;; [unrolled: 7-line block ×3, first 2 shown]
	global_load_b128 v[112:115], v12, s[10:11] offset:368
	v_add_f64_e64 v[193:194], v[4:5], -v[8:9]
	v_add_f64_e64 v[175:176], v[6:7], -v[10:11]
	s_wait_loadcnt 0x0
	v_mul_f64_e32 v[12:13], v[127:128], v[114:115]
	v_mul_f64_e32 v[14:15], v[125:126], v[114:115]
	s_delay_alu instid0(VALU_DEP_2) | instskip(NEXT) | instid1(VALU_DEP_2)
	v_fma_f64 v[12:13], v[125:126], v[112:113], -v[12:13]
	v_fma_f64 v[14:15], v[127:128], v[112:113], v[14:15]
	ds_load_b128 v[125:128], v182 offset:1600
	s_wait_dscnt 0x0
	v_mul_f64_e32 v[129:130], v[127:128], v[86:87]
	v_add_f64_e64 v[191:192], v[0:1], -v[12:13]
	v_add_f64_e64 v[173:174], v[2:3], -v[14:15]
	s_delay_alu instid0(VALU_DEP_3) | instskip(SKIP_1) | instid1(VALU_DEP_1)
	v_fma_f64 v[177:178], v[125:126], v[84:85], -v[129:130]
	v_mul_f64_e32 v[125:126], v[125:126], v[86:87]
	v_fma_f64 v[184:185], v[127:128], v[84:85], v[125:126]
	ds_load_b128 v[125:128], v182 offset:2800
	s_wait_dscnt 0x0
	v_mul_f64_e32 v[129:130], v[127:128], v[122:123]
	s_delay_alu instid0(VALU_DEP_1) | instskip(SKIP_1) | instid1(VALU_DEP_1)
	v_fma_f64 v[186:187], v[125:126], v[120:121], -v[129:130]
	v_mul_f64_e32 v[125:126], v[125:126], v[122:123]
	v_fma_f64 v[203:204], v[127:128], v[120:121], v[125:126]
	ds_load_b128 v[125:128], v182 offset:4000
	s_wait_dscnt 0x0
	v_mul_f64_e32 v[129:130], v[127:128], v[118:119]
	s_delay_alu instid0(VALU_DEP_1) | instskip(SKIP_1) | instid1(VALU_DEP_2)
	v_fma_f64 v[205:206], v[125:126], v[116:117], -v[129:130]
	v_mul_f64_e32 v[125:126], v[125:126], v[118:119]
	v_add_f64_e64 v[213:214], v[186:187], -v[205:206]
	s_delay_alu instid0(VALU_DEP_2) | instskip(SKIP_3) | instid1(VALU_DEP_1)
	v_fma_f64 v[207:208], v[127:128], v[116:117], v[125:126]
	ds_load_b128 v[125:128], v182 offset:5200
	s_wait_dscnt 0x0
	v_mul_f64_e32 v[129:130], v[127:128], v[114:115]
	v_fma_f64 v[209:210], v[125:126], v[112:113], -v[129:130]
	v_mul_f64_e32 v[125:126], v[125:126], v[114:115]
	s_delay_alu instid0(VALU_DEP_1) | instskip(SKIP_3) | instid1(VALU_DEP_1)
	v_fma_f64 v[211:212], v[127:128], v[112:113], v[125:126]
	ds_load_b128 v[128:131], v182 offset:2000
	s_wait_dscnt 0x0
	v_mul_f64_e32 v[124:125], v[130:131], v[138:139]
	v_fma_f64 v[126:127], v[128:129], v[136:137], -v[124:125]
	v_mul_f64_e32 v[124:125], v[128:129], v[138:139]
	s_delay_alu instid0(VALU_DEP_1) | instskip(SKIP_3) | instid1(VALU_DEP_1)
	v_fma_f64 v[124:125], v[130:131], v[136:137], v[124:125]
	global_load_b128 v[128:131], v16, s[10:11] offset:336
	s_wait_loadcnt 0x0
	v_mul_f64_e32 v[140:141], v[134:135], v[130:131]
	v_fma_f64 v[144:145], v[132:133], v[128:129], -v[140:141]
	v_mul_f64_e32 v[132:133], v[132:133], v[130:131]
	ds_load_b128 v[140:143], v182 offset:4400
	v_fma_f64 v[146:147], v[134:135], v[128:129], v[132:133]
	global_load_b128 v[132:135], v16, s[10:11] offset:352
	s_wait_loadcnt_dscnt 0x0
	v_mul_f64_e32 v[148:149], v[142:143], v[134:135]
	s_delay_alu instid0(VALU_DEP_1) | instskip(SKIP_1) | instid1(VALU_DEP_1)
	v_fma_f64 v[148:149], v[140:141], v[132:133], -v[148:149]
	v_mul_f64_e32 v[140:141], v[140:141], v[134:135]
	v_fma_f64 v[150:151], v[142:143], v[132:133], v[140:141]
	global_load_b128 v[140:143], v16, s[10:11] offset:368
	v_lshlrev_b32_e32 v16, 5, v17
	v_lshlrev_b32_e32 v17, 5, v156
	s_wait_loadcnt 0x0
	v_mul_f64_e32 v[161:162], v[159:160], v[142:143]
	s_delay_alu instid0(VALU_DEP_1) | instskip(SKIP_2) | instid1(VALU_DEP_2)
	v_fma_f64 v[223:224], v[157:158], v[140:141], -v[161:162]
	v_mul_f64_e32 v[157:158], v[157:158], v[142:143]
	v_add_f64_e32 v[161:162], v[4:5], v[8:9]
	v_fma_f64 v[225:226], v[159:160], v[140:141], v[157:158]
	v_add_f64_e64 v[157:158], v[0:1], -v[4:5]
	v_add_f64_e64 v[159:160], v[12:13], -v[8:9]
	s_delay_alu instid0(VALU_DEP_1) | instskip(SKIP_2) | instid1(VALU_DEP_1)
	v_add_f64_e32 v[165:166], v[157:158], v[159:160]
	v_add_f64_e64 v[157:158], v[2:3], -v[6:7]
	v_add_f64_e64 v[159:160], v[14:15], -v[10:11]
	v_add_f64_e32 v[167:168], v[157:158], v[159:160]
	ds_load_b128 v[157:160], v182
	s_wait_dscnt 0x0
	v_fma_f64 v[169:170], v[161:162], -0.5, v[157:158]
	v_add_f64_e32 v[161:162], v[6:7], v[10:11]
	s_delay_alu instid0(VALU_DEP_1) | instskip(NEXT) | instid1(VALU_DEP_3)
	v_fma_f64 v[171:172], v[161:162], -0.5, v[159:160]
	v_fma_f64 v[161:162], v[173:174], s[16:17], v[169:170]
	v_fma_f64 v[169:170], v[173:174], s[18:19], v[169:170]
	s_delay_alu instid0(VALU_DEP_3) | instskip(SKIP_1) | instid1(VALU_DEP_4)
	v_fma_f64 v[163:164], v[191:192], s[18:19], v[171:172]
	v_fma_f64 v[171:172], v[191:192], s[16:17], v[171:172]
	;; [unrolled: 1-line block ×3, first 2 shown]
	s_delay_alu instid0(VALU_DEP_4) | instskip(NEXT) | instid1(VALU_DEP_4)
	v_fma_f64 v[169:170], v[175:176], s[12:13], v[169:170]
	v_fma_f64 v[163:164], v[193:194], s[12:13], v[163:164]
	s_delay_alu instid0(VALU_DEP_4) | instskip(NEXT) | instid1(VALU_DEP_4)
	v_fma_f64 v[171:172], v[193:194], s[2:3], v[171:172]
	v_fma_f64 v[161:162], v[165:166], s[14:15], v[161:162]
	s_delay_alu instid0(VALU_DEP_4) | instskip(SKIP_4) | instid1(VALU_DEP_4)
	v_fma_f64 v[165:166], v[165:166], s[14:15], v[169:170]
	v_add_f64_e32 v[169:170], v[0:1], v[12:13]
	v_fma_f64 v[163:164], v[167:168], s[14:15], v[163:164]
	v_fma_f64 v[167:168], v[167:168], s[14:15], v[171:172]
	v_add_f64_e32 v[171:172], v[2:3], v[14:15]
	v_fma_f64 v[169:170], v[169:170], -0.5, v[157:158]
	v_add_f64_e32 v[157:158], v[157:158], v[0:1]
	v_add_f64_e64 v[0:1], v[4:5], -v[0:1]
	s_delay_alu instid0(VALU_DEP_4) | instskip(SKIP_3) | instid1(VALU_DEP_3)
	v_fma_f64 v[171:172], v[171:172], -0.5, v[159:160]
	v_add_f64_e32 v[159:160], v[159:160], v[2:3]
	v_add_f64_e64 v[2:3], v[6:7], -v[2:3]
	v_add_f64_e32 v[4:5], v[157:158], v[4:5]
	v_add_f64_e32 v[157:158], v[159:160], v[6:7]
	s_delay_alu instid0(VALU_DEP_2) | instskip(SKIP_1) | instid1(VALU_DEP_3)
	v_add_f64_e32 v[4:5], v[4:5], v[8:9]
	v_add_f64_e64 v[8:9], v[8:9], -v[12:13]
	v_add_f64_e32 v[6:7], v[157:158], v[10:11]
	s_delay_alu instid0(VALU_DEP_3)
	v_add_f64_e32 v[157:158], v[4:5], v[12:13]
	v_add_f64_e64 v[4:5], v[10:11], -v[14:15]
	v_fma_f64 v[10:11], v[175:176], s[16:17], v[169:170]
	v_fma_f64 v[12:13], v[193:194], s[16:17], v[171:172]
	v_add_f64_e32 v[0:1], v[0:1], v[8:9]
	v_add_f64_e32 v[159:160], v[6:7], v[14:15]
	v_fma_f64 v[6:7], v[175:176], s[18:19], v[169:170]
	v_fma_f64 v[14:15], v[193:194], s[18:19], v[171:172]
	v_add_f64_e32 v[2:3], v[2:3], v[4:5]
	v_fma_f64 v[8:9], v[191:192], s[12:13], v[12:13]
	s_delay_alu instid0(VALU_DEP_4)
	v_fma_f64 v[4:5], v[173:174], s[2:3], v[6:7]
	v_fma_f64 v[6:7], v[173:174], s[12:13], v[10:11]
	;; [unrolled: 1-line block ×3, first 2 shown]
	ds_load_b128 v[191:194], v182 offset:400
	v_fma_f64 v[171:172], v[2:3], s[14:15], v[8:9]
	v_add_f64_e64 v[8:9], v[184:185], -v[211:212]
	v_add_f64_e64 v[14:15], v[177:178], -v[209:210]
	v_fma_f64 v[169:170], v[0:1], s[14:15], v[4:5]
	v_fma_f64 v[173:174], v[0:1], s[14:15], v[6:7]
	;; [unrolled: 1-line block ×3, first 2 shown]
	v_add_f64_e64 v[0:1], v[177:178], -v[186:187]
	v_add_f64_e64 v[2:3], v[209:210], -v[205:206]
	;; [unrolled: 1-line block ×3, first 2 shown]
	v_add_f64_e32 v[6:7], v[203:204], v[207:208]
	v_add_f64_e64 v[10:11], v[203:204], -v[207:208]
	s_delay_alu instid0(VALU_DEP_4) | instskip(SKIP_2) | instid1(VALU_DEP_4)
	v_add_f64_e32 v[0:1], v[0:1], v[2:3]
	v_add_f64_e64 v[2:3], v[184:185], -v[203:204]
	s_wait_dscnt 0x0
	v_fma_f64 v[6:7], v[6:7], -0.5, v[193:194]
	s_delay_alu instid0(VALU_DEP_2) | instskip(SKIP_1) | instid1(VALU_DEP_3)
	v_add_f64_e32 v[2:3], v[2:3], v[4:5]
	v_add_f64_e32 v[4:5], v[186:187], v[205:206]
	v_fma_f64 v[195:196], v[14:15], s[18:19], v[6:7]
	v_fma_f64 v[6:7], v[14:15], s[16:17], v[6:7]
	s_delay_alu instid0(VALU_DEP_3) | instskip(NEXT) | instid1(VALU_DEP_3)
	v_fma_f64 v[4:5], v[4:5], -0.5, v[191:192]
	v_fma_f64 v[197:198], v[213:214], s[12:13], v[195:196]
	s_delay_alu instid0(VALU_DEP_3) | instskip(NEXT) | instid1(VALU_DEP_3)
	v_fma_f64 v[6:7], v[213:214], s[2:3], v[6:7]
	v_fma_f64 v[12:13], v[8:9], s[16:17], v[4:5]
	;; [unrolled: 1-line block ×3, first 2 shown]
	s_delay_alu instid0(VALU_DEP_3)
	v_fma_f64 v[201:202], v[2:3], s[14:15], v[6:7]
	v_add_f64_e32 v[6:7], v[193:194], v[184:185]
	v_fma_f64 v[197:198], v[2:3], s[14:15], v[197:198]
	v_add_f64_e32 v[2:3], v[184:185], v[211:212]
	v_fma_f64 v[12:13], v[10:11], s[2:3], v[12:13]
	v_fma_f64 v[4:5], v[10:11], s[12:13], v[4:5]
	v_add_f64_e32 v[6:7], v[6:7], v[203:204]
	s_delay_alu instid0(VALU_DEP_4) | instskip(NEXT) | instid1(VALU_DEP_4)
	v_fma_f64 v[2:3], v[2:3], -0.5, v[193:194]
	v_fma_f64 v[195:196], v[0:1], s[14:15], v[12:13]
	s_delay_alu instid0(VALU_DEP_4)
	v_fma_f64 v[199:200], v[0:1], s[14:15], v[4:5]
	v_add_f64_e32 v[4:5], v[191:192], v[177:178]
	v_add_f64_e32 v[0:1], v[177:178], v[209:210]
	;; [unrolled: 1-line block ×3, first 2 shown]
	v_add_f64_e64 v[12:13], v[186:187], -v[177:178]
	v_add_f64_e64 v[177:178], v[203:204], -v[184:185]
	;; [unrolled: 1-line block ×3, first 2 shown]
	v_add_f64_e32 v[4:5], v[4:5], v[186:187]
	v_fma_f64 v[0:1], v[0:1], -0.5, v[191:192]
	v_add_f64_e32 v[193:194], v[6:7], v[211:212]
	s_delay_alu instid0(VALU_DEP_4) | instskip(NEXT) | instid1(VALU_DEP_4)
	v_add_f64_e32 v[12:13], v[12:13], v[184:185]
	v_add_f64_e32 v[4:5], v[4:5], v[205:206]
	s_delay_alu instid0(VALU_DEP_4)
	v_fma_f64 v[6:7], v[10:11], s[18:19], v[0:1]
	v_fma_f64 v[0:1], v[10:11], s[16:17], v[0:1]
	;; [unrolled: 1-line block ×4, first 2 shown]
	v_add_f64_e32 v[191:192], v[4:5], v[209:210]
	v_add_f64_e64 v[4:5], v[207:208], -v[211:212]
	v_fma_f64 v[0:1], v[8:9], s[12:13], v[0:1]
	v_fma_f64 v[6:7], v[8:9], s[2:3], v[6:7]
	v_fma_f64 v[2:3], v[14:15], s[2:3], v[2:3]
	v_fma_f64 v[8:9], v[14:15], s[12:13], v[10:11]
	ds_load_b128 v[211:214], v182 offset:800
	v_add_f64_e64 v[14:15], v[144:145], -v[148:149]
	v_add_f64_e64 v[10:11], v[124:125], -v[225:226]
	global_wb scope:SCOPE_SE
	s_wait_storecnt_dscnt 0x0
	s_barrier_signal -1
	s_barrier_wait -1
	global_inv scope:SCOPE_SE
	v_add_f64_e32 v[4:5], v[177:178], v[4:5]
	v_fma_f64 v[207:208], v[12:13], s[14:15], v[0:1]
	v_add_f64_e64 v[0:1], v[144:145], -v[126:127]
	v_fma_f64 v[203:204], v[12:13], s[14:15], v[6:7]
	v_add_f64_e32 v[6:7], v[124:125], v[225:226]
	v_add_f64_e64 v[177:178], v[126:127], -v[223:224]
	v_fma_f64 v[209:210], v[4:5], s[14:15], v[2:3]
	v_add_f64_e64 v[2:3], v[148:149], -v[223:224]
	v_fma_f64 v[205:206], v[4:5], s[14:15], v[8:9]
	v_add_f64_e64 v[4:5], v[150:151], -v[225:226]
	v_fma_f64 v[6:7], v[6:7], -0.5, v[213:214]
	v_add_f64_e64 v[8:9], v[146:147], -v[150:151]
	ds_store_b128 v182, v[157:160]
	ds_store_b128 v182, v[191:194] offset:2000
	ds_store_b128 v182, v[161:164] offset:400
	;; [unrolled: 1-line block ×9, first 2 shown]
	v_add_f64_e32 v[0:1], v[0:1], v[2:3]
	v_add_f64_e64 v[2:3], v[146:147], -v[124:125]
	v_fma_f64 v[184:185], v[14:15], s[16:17], v[6:7]
	v_fma_f64 v[6:7], v[14:15], s[18:19], v[6:7]
	s_delay_alu instid0(VALU_DEP_3) | instskip(SKIP_1) | instid1(VALU_DEP_4)
	v_add_f64_e32 v[2:3], v[2:3], v[4:5]
	v_add_f64_e32 v[4:5], v[126:127], v[223:224]
	v_fma_f64 v[184:185], v[177:178], s[12:13], v[184:185]
	s_delay_alu instid0(VALU_DEP_4) | instskip(NEXT) | instid1(VALU_DEP_3)
	v_fma_f64 v[6:7], v[177:178], s[2:3], v[6:7]
	v_fma_f64 v[4:5], v[4:5], -0.5, v[211:212]
	s_delay_alu instid0(VALU_DEP_3) | instskip(NEXT) | instid1(VALU_DEP_3)
	v_fma_f64 v[217:218], v[2:3], s[14:15], v[184:185]
	v_fma_f64 v[221:222], v[2:3], s[14:15], v[6:7]
	v_add_f64_e32 v[6:7], v[213:214], v[124:125]
	v_add_f64_e32 v[2:3], v[146:147], v[150:151]
	v_fma_f64 v[12:13], v[8:9], s[18:19], v[4:5]
	v_fma_f64 v[4:5], v[8:9], s[16:17], v[4:5]
	s_delay_alu instid0(VALU_DEP_4) | instskip(NEXT) | instid1(VALU_DEP_4)
	v_add_f64_e32 v[6:7], v[6:7], v[146:147]
	v_fma_f64 v[2:3], v[2:3], -0.5, v[213:214]
	s_delay_alu instid0(VALU_DEP_4) | instskip(NEXT) | instid1(VALU_DEP_4)
	v_fma_f64 v[12:13], v[10:11], s[2:3], v[12:13]
	v_fma_f64 v[4:5], v[10:11], s[12:13], v[4:5]
	s_delay_alu instid0(VALU_DEP_4) | instskip(NEXT) | instid1(VALU_DEP_3)
	v_add_f64_e32 v[6:7], v[6:7], v[150:151]
	v_fma_f64 v[215:216], v[0:1], s[14:15], v[12:13]
	s_delay_alu instid0(VALU_DEP_3) | instskip(SKIP_4) | instid1(VALU_DEP_4)
	v_fma_f64 v[219:220], v[0:1], s[14:15], v[4:5]
	v_add_f64_e32 v[4:5], v[211:212], v[126:127]
	v_add_f64_e32 v[0:1], v[144:145], v[148:149]
	v_add_f64_e64 v[12:13], v[126:127], -v[144:145]
	v_add_f64_e32 v[126:127], v[6:7], v[225:226]
	v_add_f64_e32 v[4:5], v[4:5], v[144:145]
	s_delay_alu instid0(VALU_DEP_4) | instskip(SKIP_2) | instid1(VALU_DEP_4)
	v_fma_f64 v[0:1], v[0:1], -0.5, v[211:212]
	v_add_f64_e64 v[144:145], v[124:125], -v[146:147]
	v_add_f64_e64 v[146:147], v[223:224], -v[148:149]
	v_add_f64_e32 v[4:5], v[4:5], v[148:149]
	s_delay_alu instid0(VALU_DEP_4)
	v_fma_f64 v[6:7], v[10:11], s[16:17], v[0:1]
	v_fma_f64 v[0:1], v[10:11], s[18:19], v[0:1]
	;; [unrolled: 1-line block ×4, first 2 shown]
	v_add_f64_e32 v[12:13], v[12:13], v[146:147]
	v_add_f64_e32 v[124:125], v[4:5], v[223:224]
	v_add_f64_e64 v[4:5], v[225:226], -v[150:151]
	v_fma_f64 v[6:7], v[8:9], s[2:3], v[6:7]
	v_fma_f64 v[0:1], v[8:9], s[12:13], v[0:1]
	;; [unrolled: 1-line block ×4, first 2 shown]
	v_add_f64_e32 v[4:5], v[144:145], v[4:5]
	v_fma_f64 v[144:145], v[12:13], s[14:15], v[6:7]
	v_fma_f64 v[148:149], v[12:13], s[14:15], v[0:1]
	v_lshlrev_b32_e32 v12, 5, v153
	s_delay_alu instid0(VALU_DEP_4)
	v_fma_f64 v[146:147], v[4:5], s[14:15], v[8:9]
	v_fma_f64 v[150:151], v[4:5], s[14:15], v[2:3]
	ds_store_b128 v181, v[124:127] offset:4000
	ds_store_b128 v181, v[144:147] offset:4400
	;; [unrolled: 1-line block ×5, first 2 shown]
	global_wb scope:SCOPE_SE
	s_wait_dscnt 0x0
	s_barrier_signal -1
	s_barrier_wait -1
	global_inv scope:SCOPE_SE
	global_load_b128 v[124:127], v16, s[10:11] offset:1920
	ds_load_b128 v[144:147], v182 offset:2000
	ds_load_b128 v[239:242], v182 offset:1600
	;; [unrolled: 1-line block ×8, first 2 shown]
	s_wait_loadcnt_dscnt 0x7
	v_mul_f64_e32 v[0:1], v[146:147], v[126:127]
	v_mul_f64_e32 v[2:3], v[144:145], v[126:127]
	s_delay_alu instid0(VALU_DEP_2) | instskip(NEXT) | instid1(VALU_DEP_2)
	v_fma_f64 v[0:1], v[144:145], v[124:125], -v[0:1]
	v_fma_f64 v[2:3], v[146:147], v[124:125], v[2:3]
	global_load_b128 v[144:147], v16, s[10:11] offset:1936
	s_wait_loadcnt_dscnt 0x5
	v_mul_f64_e32 v[4:5], v[150:151], v[146:147]
	v_mul_f64_e32 v[6:7], v[148:149], v[146:147]
	s_delay_alu instid0(VALU_DEP_2) | instskip(NEXT) | instid1(VALU_DEP_2)
	v_fma_f64 v[4:5], v[148:149], v[144:145], -v[4:5]
	v_fma_f64 v[6:7], v[150:151], v[144:145], v[6:7]
	global_load_b128 v[148:151], v12, s[10:11] offset:1920
	;; [unrolled: 7-line block ×4, first 2 shown]
	ds_load_b128 v[160:163], v182 offset:2800
	s_wait_loadcnt_dscnt 0x0
	v_mul_f64_e32 v[164:165], v[162:163], v[158:159]
	s_delay_alu instid0(VALU_DEP_1)
	v_fma_f64 v[184:185], v[160:161], v[156:157], -v[164:165]
	v_mul_f64_e32 v[160:161], v[160:161], v[158:159]
	ds_load_b128 v[164:167], v182 offset:4800
	v_fma_f64 v[186:187], v[162:163], v[156:157], v[160:161]
	global_load_b128 v[160:163], v17, s[10:11] offset:1936
	v_add_nc_u32_e32 v17, 0x960, v16
	v_add_nc_u32_e32 v16, 0xc80, v16
	s_wait_loadcnt_dscnt 0x0
	v_mul_f64_e32 v[168:169], v[166:167], v[162:163]
	s_delay_alu instid0(VALU_DEP_1)
	v_fma_f64 v[219:220], v[164:165], v[160:161], -v[168:169]
	v_mul_f64_e32 v[164:165], v[164:165], v[162:163]
	ds_load_b128 v[168:171], v182 offset:3200
	v_fma_f64 v[221:222], v[166:167], v[160:161], v[164:165]
	global_load_b128 v[164:167], v17, s[10:11] offset:1920
	s_wait_loadcnt_dscnt 0x0
	v_mul_f64_e32 v[172:173], v[170:171], v[166:167]
	s_delay_alu instid0(VALU_DEP_1)
	v_fma_f64 v[231:232], v[168:169], v[164:165], -v[172:173]
	v_mul_f64_e32 v[168:169], v[168:169], v[166:167]
	ds_load_b128 v[172:175], v182 offset:5200
	v_fma_f64 v[233:234], v[170:171], v[164:165], v[168:169]
	global_load_b128 v[168:171], v17, s[10:11] offset:1936
	;; [unrolled: 8-line block ×4, first 2 shown]
	s_mov_b32 s10, 0xe8584caa
	s_mov_b32 s11, 0x3febb67a
	;; [unrolled: 1-line block ×3, first 2 shown]
	s_wait_loadcnt_dscnt 0x0
	v_mul_f64_e32 v[195:196], v[193:194], v[178:179]
	s_delay_alu instid0(VALU_DEP_1) | instskip(SKIP_2) | instid1(VALU_DEP_2)
	v_fma_f64 v[247:248], v[191:192], v[176:177], -v[195:196]
	v_mul_f64_e32 v[191:192], v[191:192], v[178:179]
	v_add_f64_e32 v[195:196], v[0:1], v[4:5]
	v_fma_f64 v[249:250], v[193:194], v[176:177], v[191:192]
	ds_load_b128 v[191:194], v182
	s_wait_dscnt 0x0
	v_fma_f64 v[197:198], v[195:196], -0.5, v[191:192]
	v_add_f64_e32 v[195:196], v[2:3], v[6:7]
	v_add_f64_e32 v[191:192], v[191:192], v[0:1]
	v_add_f64_e64 v[0:1], v[0:1], -v[4:5]
	s_delay_alu instid0(VALU_DEP_3) | instskip(SKIP_4) | instid1(VALU_DEP_4)
	v_fma_f64 v[201:202], v[195:196], -0.5, v[193:194]
	v_add_f64_e32 v[193:194], v[193:194], v[2:3]
	v_add_f64_e64 v[2:3], v[2:3], -v[6:7]
	v_add_f64_e32 v[191:192], v[191:192], v[4:5]
	v_add_f64_e32 v[4:5], v[205:206], v[10:11]
	;; [unrolled: 1-line block ×3, first 2 shown]
	s_delay_alu instid0(VALU_DEP_4)
	v_fma_f64 v[195:196], v[2:3], s[10:11], v[197:198]
	v_fma_f64 v[199:200], v[2:3], s[20:21], v[197:198]
	;; [unrolled: 1-line block ×4, first 2 shown]
	v_add_f64_e32 v[0:1], v[8:9], v[12:13]
	v_add_f64_e32 v[2:3], v[10:11], v[14:15]
	v_add_f64_e64 v[10:11], v[10:11], -v[14:15]
	v_add_f64_e32 v[6:7], v[203:204], v[8:9]
	s_delay_alu instid0(VALU_DEP_4) | instskip(NEXT) | instid1(VALU_DEP_4)
	v_fma_f64 v[0:1], v[0:1], -0.5, v[203:204]
	v_fma_f64 v[2:3], v[2:3], -0.5, v[205:206]
	v_add_f64_e32 v[205:206], v[4:5], v[14:15]
	v_add_f64_e64 v[4:5], v[8:9], -v[12:13]
	v_add_f64_e32 v[203:204], v[6:7], v[12:13]
	v_add_f64_e32 v[6:7], v[215:216], v[184:185]
	v_add_f64_e64 v[8:9], v[186:187], -v[221:222]
	v_fma_f64 v[207:208], v[10:11], s[10:11], v[0:1]
	v_fma_f64 v[211:212], v[10:11], s[20:21], v[0:1]
	v_add_f64_e32 v[0:1], v[184:185], v[219:220]
	v_fma_f64 v[209:210], v[4:5], s[20:21], v[2:3]
	v_fma_f64 v[213:214], v[4:5], s[10:11], v[2:3]
	v_add_f64_e32 v[2:3], v[186:187], v[221:222]
	v_add_f64_e32 v[4:5], v[217:218], v[186:187]
	v_fma_f64 v[0:1], v[0:1], -0.5, v[215:216]
	v_add_f64_e32 v[215:216], v[6:7], v[219:220]
	v_add_f64_e32 v[6:7], v[227:228], v[231:232]
	v_fma_f64 v[2:3], v[2:3], -0.5, v[217:218]
	v_add_f64_e32 v[217:218], v[4:5], v[221:222]
	v_add_f64_e64 v[4:5], v[184:185], -v[219:220]
	v_fma_f64 v[219:220], v[8:9], s[10:11], v[0:1]
	v_fma_f64 v[223:224], v[8:9], s[20:21], v[0:1]
	v_add_f64_e32 v[0:1], v[231:232], v[235:236]
	v_add_f64_e64 v[8:9], v[233:234], -v[237:238]
	v_fma_f64 v[221:222], v[4:5], s[20:21], v[2:3]
	v_fma_f64 v[225:226], v[4:5], s[10:11], v[2:3]
	v_add_f64_e32 v[2:3], v[233:234], v[237:238]
	v_add_f64_e32 v[4:5], v[229:230], v[233:234]
	v_fma_f64 v[0:1], v[0:1], -0.5, v[227:228]
	v_add_f64_e32 v[227:228], v[6:7], v[235:236]
	v_add_f64_e32 v[6:7], v[239:240], v[243:244]
	v_fma_f64 v[2:3], v[2:3], -0.5, v[229:230]
	v_add_f64_e32 v[229:230], v[4:5], v[237:238]
	v_add_f64_e64 v[4:5], v[231:232], -v[235:236]
	v_fma_f64 v[231:232], v[8:9], s[10:11], v[0:1]
	v_fma_f64 v[235:236], v[8:9], s[20:21], v[0:1]
	v_add_f64_e32 v[0:1], v[243:244], v[247:248]
	v_add_f64_e64 v[8:9], v[245:246], -v[249:250]
	v_fma_f64 v[233:234], v[4:5], s[20:21], v[2:3]
	v_fma_f64 v[237:238], v[4:5], s[10:11], v[2:3]
	v_add_f64_e32 v[2:3], v[245:246], v[249:250]
	v_add_f64_e32 v[4:5], v[241:242], v[245:246]
	v_fma_f64 v[0:1], v[0:1], -0.5, v[239:240]
	v_add_f64_e32 v[239:240], v[6:7], v[247:248]
	s_delay_alu instid0(VALU_DEP_4) | instskip(NEXT) | instid1(VALU_DEP_4)
	v_fma_f64 v[2:3], v[2:3], -0.5, v[241:242]
	v_add_f64_e32 v[241:242], v[4:5], v[249:250]
	v_add_f64_e64 v[4:5], v[243:244], -v[247:248]
	v_fma_f64 v[243:244], v[8:9], s[10:11], v[0:1]
	v_fma_f64 v[247:248], v[8:9], s[20:21], v[0:1]
	s_delay_alu instid0(VALU_DEP_3)
	v_fma_f64 v[245:246], v[4:5], s[20:21], v[2:3]
	v_fma_f64 v[249:250], v[4:5], s[10:11], v[2:3]
	ds_store_b128 v182, v[191:194]
	ds_store_b128 v182, v[203:206] offset:400
	ds_store_b128 v182, v[215:218] offset:800
	;; [unrolled: 1-line block ×14, first 2 shown]
	global_wb scope:SCOPE_SE
	s_wait_dscnt 0x0
	s_barrier_signal -1
	s_barrier_wait -1
	global_inv scope:SCOPE_SE
	global_load_b128 v[191:194], v183, s[8:9] offset:6000
	ds_load_b128 v[195:198], v182
	ds_load_b128 v[225:228], v182 offset:400
	s_add_nc_u64 s[8:9], s[8:9], 0x1770
	ds_load_b128 v[201:204], v182 offset:1200
	ds_load_b128 v[231:234], v182 offset:1600
	;; [unrolled: 1-line block ×9, first 2 shown]
	s_wait_loadcnt_dscnt 0xa
	v_mul_f64_e32 v[0:1], v[197:198], v[193:194]
	v_mul_f64_e32 v[2:3], v[195:196], v[193:194]
	s_delay_alu instid0(VALU_DEP_2) | instskip(NEXT) | instid1(VALU_DEP_2)
	v_fma_f64 v[193:194], v[195:196], v[191:192], -v[0:1]
	v_fma_f64 v[195:196], v[197:198], v[191:192], v[2:3]
	global_load_b128 v[197:200], v183, s[8:9] offset:1200
	s_wait_loadcnt_dscnt 0x8
	v_mul_f64_e32 v[0:1], v[203:204], v[199:200]
	v_mul_f64_e32 v[2:3], v[201:202], v[199:200]
	s_delay_alu instid0(VALU_DEP_2) | instskip(NEXT) | instid1(VALU_DEP_2)
	v_fma_f64 v[199:200], v[201:202], v[197:198], -v[0:1]
	v_fma_f64 v[201:202], v[203:204], v[197:198], v[2:3]
	global_load_b128 v[203:206], v183, s[8:9] offset:2400
	s_wait_loadcnt_dscnt 0x6
	v_mul_f64_e32 v[0:1], v[209:210], v[205:206]
	v_mul_f64_e32 v[2:3], v[207:208], v[205:206]
	s_delay_alu instid0(VALU_DEP_2) | instskip(NEXT) | instid1(VALU_DEP_2)
	v_fma_f64 v[205:206], v[207:208], v[203:204], -v[0:1]
	v_fma_f64 v[207:208], v[209:210], v[203:204], v[2:3]
	global_load_b128 v[209:212], v183, s[8:9] offset:3600
	s_wait_loadcnt_dscnt 0x4
	v_mul_f64_e32 v[0:1], v[215:216], v[211:212]
	v_mul_f64_e32 v[2:3], v[213:214], v[211:212]
	s_delay_alu instid0(VALU_DEP_2) | instskip(NEXT) | instid1(VALU_DEP_2)
	v_fma_f64 v[211:212], v[213:214], v[209:210], -v[0:1]
	v_fma_f64 v[213:214], v[215:216], v[209:210], v[2:3]
	global_load_b128 v[215:218], v183, s[8:9] offset:4800
	s_wait_loadcnt_dscnt 0x2
	v_mul_f64_e32 v[0:1], v[221:222], v[217:218]
	v_mul_f64_e32 v[2:3], v[219:220], v[217:218]
	s_delay_alu instid0(VALU_DEP_2) | instskip(NEXT) | instid1(VALU_DEP_2)
	v_fma_f64 v[217:218], v[219:220], v[215:216], -v[0:1]
	v_fma_f64 v[219:220], v[221:222], v[215:216], v[2:3]
	global_load_b128 v[221:224], v183, s[8:9] offset:400
	s_wait_loadcnt 0x0
	v_mul_f64_e32 v[0:1], v[227:228], v[223:224]
	v_mul_f64_e32 v[2:3], v[225:226], v[223:224]
	s_delay_alu instid0(VALU_DEP_2) | instskip(NEXT) | instid1(VALU_DEP_2)
	v_fma_f64 v[223:224], v[225:226], v[221:222], -v[0:1]
	v_fma_f64 v[225:226], v[227:228], v[221:222], v[2:3]
	global_load_b128 v[227:230], v183, s[8:9] offset:1600
	s_wait_loadcnt 0x0
	v_mul_f64_e32 v[0:1], v[233:234], v[229:230]
	v_mul_f64_e32 v[2:3], v[231:232], v[229:230]
	s_delay_alu instid0(VALU_DEP_2) | instskip(NEXT) | instid1(VALU_DEP_2)
	v_fma_f64 v[229:230], v[231:232], v[227:228], -v[0:1]
	v_fma_f64 v[231:232], v[233:234], v[227:228], v[2:3]
	global_load_b128 v[233:236], v183, s[8:9] offset:2800
	;; [unrolled: 7-line block ×4, first 2 shown]
	s_wait_loadcnt_dscnt 0x1
	v_mul_f64_e32 v[0:1], v[251:252], v[247:248]
	v_mul_f64_e32 v[2:3], v[249:250], v[247:248]
	s_delay_alu instid0(VALU_DEP_2) | instskip(NEXT) | instid1(VALU_DEP_2)
	v_fma_f64 v[247:248], v[249:250], v[245:246], -v[0:1]
	v_fma_f64 v[249:250], v[251:252], v[245:246], v[2:3]
	global_load_b128 v[251:254], v183, s[8:9] offset:800
	ds_load_b128 v[0:3], v182 offset:800
	s_wait_loadcnt_dscnt 0x0
	v_mul_f64_e32 v[4:5], v[2:3], v[253:254]
	v_mul_f64_e32 v[6:7], v[0:1], v[253:254]
	s_delay_alu instid0(VALU_DEP_2) | instskip(NEXT) | instid1(VALU_DEP_2)
	v_fma_f64 v[0:1], v[0:1], v[251:252], -v[4:5]
	v_fma_f64 v[2:3], v[2:3], v[251:252], v[6:7]
	global_load_b128 v[251:254], v183, s[8:9] offset:2000
	s_wait_loadcnt 0x0
	v_mul_f64_e32 v[4:5], v[186:187], v[253:254]
	v_mul_f64_e32 v[6:7], v[184:185], v[253:254]
	s_delay_alu instid0(VALU_DEP_2) | instskip(NEXT) | instid1(VALU_DEP_2)
	v_fma_f64 v[184:185], v[184:185], v[251:252], -v[4:5]
	v_fma_f64 v[186:187], v[186:187], v[251:252], v[6:7]
	global_load_b128 v[251:254], v183, s[8:9] offset:3200
	ds_load_b128 v[4:7], v182 offset:3200
	s_wait_loadcnt_dscnt 0x0
	v_mul_f64_e32 v[8:9], v[6:7], v[253:254]
	v_mul_f64_e32 v[10:11], v[4:5], v[253:254]
	s_delay_alu instid0(VALU_DEP_2) | instskip(NEXT) | instid1(VALU_DEP_2)
	v_fma_f64 v[4:5], v[4:5], v[251:252], -v[8:9]
	v_fma_f64 v[6:7], v[6:7], v[251:252], v[10:11]
	global_load_b128 v[251:254], v183, s[8:9] offset:4400
	ds_load_b128 v[8:11], v182 offset:4400
	s_wait_loadcnt_dscnt 0x0
	;; [unrolled: 8-line block ×3, first 2 shown]
	v_mul_f64_e32 v[191:192], v[14:15], v[253:254]
	v_mul_f64_e32 v[197:198], v[12:13], v[253:254]
	s_delay_alu instid0(VALU_DEP_2) | instskip(NEXT) | instid1(VALU_DEP_2)
	v_fma_f64 v[12:13], v[12:13], v[251:252], -v[191:192]
	v_fma_f64 v[14:15], v[14:15], v[251:252], v[197:198]
	ds_store_b128 v182, v[193:196]
	ds_store_b128 v182, v[223:226] offset:400
	ds_store_b128 v182, v[205:208] offset:2400
	;; [unrolled: 1-line block ×14, first 2 shown]
	global_wb scope:SCOPE_SE
	s_wait_dscnt 0x0
	s_barrier_signal -1
	s_barrier_wait -1
	global_inv scope:SCOPE_SE
	ds_load_b128 v[0:3], v182 offset:1200
	ds_load_b128 v[4:7], v182
	ds_load_b128 v[8:11], v182 offset:2400
	s_wait_dscnt 0x1
	v_add_f64_e32 v[12:13], v[4:5], v[0:1]
	s_wait_dscnt 0x0
	v_add_f64_e64 v[207:208], v[0:1], -v[8:9]
	v_add_f64_e64 v[209:210], v[8:9], -v[0:1]
	;; [unrolled: 1-line block ×4, first 2 shown]
	v_add_f64_e32 v[183:184], v[12:13], v[8:9]
	v_add_f64_e32 v[12:13], v[6:7], v[2:3]
	s_delay_alu instid0(VALU_DEP_1)
	v_add_f64_e32 v[185:186], v[12:13], v[10:11]
	ds_load_b128 v[12:15], v182 offset:3600
	s_wait_dscnt 0x0
	v_add_f64_e32 v[203:204], v[8:9], v[12:13]
	v_add_f64_e64 v[205:206], v[10:11], -v[14:15]
	v_add_f64_e32 v[211:212], v[10:11], v[14:15]
	v_add_f64_e64 v[213:214], v[8:9], -v[12:13]
	ds_load_b128 v[8:11], v182 offset:4800
	s_wait_dscnt 0x0
	v_add_f64_e64 v[219:220], v[2:3], -v[10:11]
	v_add_f64_e32 v[221:222], v[0:1], v[8:9]
	v_add_f64_e64 v[223:224], v[0:1], -v[8:9]
	v_add_f64_e32 v[225:226], v[2:3], v[10:11]
	v_add_f64_e32 v[0:1], v[183:184], v[12:13]
	;; [unrolled: 1-line block ×3, first 2 shown]
	v_add_f64_e64 v[227:228], v[8:9], -v[12:13]
	v_add_f64_e64 v[229:230], v[12:13], -v[8:9]
	;; [unrolled: 1-line block ×4, first 2 shown]
	v_fma_f64 v[66:67], v[211:212], -0.5, v[6:7]
	v_add_f64_e32 v[0:1], v[0:1], v[8:9]
	v_add_f64_e32 v[2:3], v[2:3], v[10:11]
	ds_load_b128 v[8:11], v182 offset:400
	ds_load_b128 v[12:15], v182 offset:1600
	;; [unrolled: 1-line block ×3, first 2 shown]
	s_wait_dscnt 0x1
	v_add_f64_e32 v[191:192], v[8:9], v[12:13]
	s_wait_dscnt 0x0
	v_add_f64_e64 v[239:240], v[12:13], -v[183:184]
	v_add_f64_e64 v[241:242], v[183:184], -v[12:13]
	v_add_f64_e64 v[247:248], v[14:15], -v[185:186]
	v_add_f64_e64 v[249:250], v[185:186], -v[14:15]
	v_add_f64_e32 v[195:196], v[191:192], v[183:184]
	v_add_f64_e32 v[191:192], v[10:11], v[14:15]
	s_delay_alu instid0(VALU_DEP_1)
	v_add_f64_e32 v[197:198], v[191:192], v[185:186]
	ds_load_b128 v[191:194], v182 offset:4000
	s_wait_dscnt 0x0
	v_add_f64_e32 v[235:236], v[183:184], v[191:192]
	v_add_f64_e64 v[237:238], v[185:186], -v[193:194]
	v_add_f64_e32 v[243:244], v[185:186], v[193:194]
	v_add_f64_e64 v[245:246], v[183:184], -v[191:192]
	ds_load_b128 v[183:186], v182 offset:5200
	s_wait_dscnt 0x0
	v_add_f64_e64 v[251:252], v[14:15], -v[185:186]
	v_add_f64_e32 v[253:254], v[12:13], v[183:184]
	v_add_f64_e64 v[16:17], v[12:13], -v[183:184]
	v_add_f64_e32 v[23:24], v[14:15], v[185:186]
	v_add_f64_e32 v[12:13], v[195:196], v[191:192]
	;; [unrolled: 1-line block ×3, first 2 shown]
	v_add_f64_e64 v[64:65], v[183:184], -v[191:192]
	v_add_f64_e64 v[25:26], v[191:192], -v[183:184]
	;; [unrolled: 1-line block ×4, first 2 shown]
	v_add_f64_e32 v[12:13], v[12:13], v[183:184]
	v_add_f64_e32 v[14:15], v[14:15], v[185:186]
	ds_load_b128 v[183:186], v182 offset:800
	ds_load_b128 v[191:194], v182 offset:2000
	ds_load_b128 v[195:198], v182 offset:3200
	s_wait_dscnt 0x1
	v_add_f64_e32 v[199:200], v[183:184], v[191:192]
	v_add_f64_e32 v[33:34], v[185:186], v[193:194]
	s_wait_dscnt 0x0
	v_add_f64_e64 v[35:36], v[191:192], -v[195:196]
	v_add_f64_e64 v[41:42], v[195:196], -v[191:192]
	;; [unrolled: 1-line block ×4, first 2 shown]
	v_add_f64_e32 v[27:28], v[199:200], v[195:196]
	ds_load_b128 v[199:202], v182 offset:4400
	v_add_f64_e32 v[33:34], v[33:34], v[197:198]
	s_wait_dscnt 0x0
	v_add_f64_e32 v[31:32], v[195:196], v[199:200]
	v_add_f64_e64 v[37:38], v[197:198], -v[201:202]
	v_add_f64_e32 v[39:40], v[197:198], v[201:202]
	v_add_f64_e64 v[45:46], v[195:196], -v[199:200]
	ds_load_b128 v[195:198], v182 offset:5600
	global_wb scope:SCOPE_SE
	s_wait_dscnt 0x0
	s_barrier_signal -1
	s_barrier_wait -1
	global_inv scope:SCOPE_SE
	v_add_f64_e32 v[27:28], v[27:28], v[199:200]
	v_add_f64_e32 v[33:34], v[33:34], v[201:202]
	;; [unrolled: 1-line block ×3, first 2 shown]
	v_add_f64_e64 v[51:52], v[191:192], -v[195:196]
	v_add_f64_e64 v[55:56], v[195:196], -v[199:200]
	;; [unrolled: 1-line block ×4, first 2 shown]
	v_add_f64_e32 v[57:58], v[193:194], v[197:198]
	v_add_f64_e64 v[62:63], v[197:198], -v[201:202]
	v_add_f64_e64 v[18:19], v[201:202], -v[197:198]
	v_add_f64_e32 v[199:200], v[217:218], v[233:234]
	v_add_f64_e32 v[191:192], v[27:28], v[195:196]
	v_fma_f64 v[27:28], v[221:222], -0.5, v[4:5]
	v_fma_f64 v[195:196], v[225:226], -0.5, v[6:7]
	v_add_f64_e32 v[193:194], v[33:34], v[197:198]
	v_fma_f64 v[33:34], v[203:204], -0.5, v[4:5]
	v_add_f64_e32 v[197:198], v[209:210], v[229:230]
	v_add_f64_e32 v[203:204], v[207:208], v[227:228]
	;; [unrolled: 1-line block ×3, first 2 shown]
	v_fma_f64 v[4:5], v[205:206], s[16:17], v[27:28]
	v_fma_f64 v[6:7], v[213:214], s[18:19], v[195:196]
	;; [unrolled: 1-line block ×4, first 2 shown]
	s_delay_alu instid0(VALU_DEP_4) | instskip(NEXT) | instid1(VALU_DEP_4)
	v_fma_f64 v[4:5], v[219:220], s[12:13], v[4:5]
	v_fma_f64 v[6:7], v[223:224], s[2:3], v[6:7]
	s_delay_alu instid0(VALU_DEP_4) | instskip(NEXT) | instid1(VALU_DEP_4)
	v_fma_f64 v[27:28], v[219:220], s[2:3], v[27:28]
	v_fma_f64 v[201:202], v[223:224], s[12:13], v[195:196]
	;; [unrolled: 3-line block ×4, first 2 shown]
	v_fma_f64 v[27:28], v[219:220], s[18:19], v[33:34]
	v_fma_f64 v[199:200], v[223:224], s[16:17], v[66:67]
	;; [unrolled: 1-line block ×4, first 2 shown]
	s_delay_alu instid0(VALU_DEP_4) | instskip(NEXT) | instid1(VALU_DEP_4)
	v_fma_f64 v[27:28], v[205:206], s[12:13], v[27:28]
	v_fma_f64 v[201:202], v[213:214], s[2:3], v[199:200]
	s_delay_alu instid0(VALU_DEP_4) | instskip(NEXT) | instid1(VALU_DEP_4)
	v_fma_f64 v[33:34], v[205:206], s[2:3], v[33:34]
	v_fma_f64 v[66:67], v[213:214], s[12:13], v[66:67]
	;; [unrolled: 3-line block ×4, first 2 shown]
	ds_store_b128 v22, v[0:3]
	ds_store_b128 v22, v[199:202] offset:16
	ds_store_b128 v22, v[4:7] offset:32
	ds_store_b128 v22, v[195:198] offset:48
	ds_store_b128 v22, v[203:206] offset:64
	v_fma_f64 v[4:5], v[253:254], -0.5, v[8:9]
	v_fma_f64 v[6:7], v[23:24], -0.5, v[10:11]
	;; [unrolled: 1-line block ×4, first 2 shown]
	v_add_f64_e32 v[10:11], v[241:242], v[25:26]
	v_add_f64_e32 v[22:23], v[249:250], v[29:30]
	;; [unrolled: 1-line block ×3, first 2 shown]
	v_fma_f64 v[0:1], v[237:238], s[16:17], v[4:5]
	v_fma_f64 v[2:3], v[245:246], s[18:19], v[6:7]
	v_fma_f64 v[4:5], v[237:238], s[18:19], v[4:5]
	v_fma_f64 v[6:7], v[245:246], s[16:17], v[6:7]
	s_delay_alu instid0(VALU_DEP_4) | instskip(NEXT) | instid1(VALU_DEP_4)
	v_fma_f64 v[0:1], v[251:252], s[12:13], v[0:1]
	v_fma_f64 v[2:3], v[16:17], s[2:3], v[2:3]
	s_delay_alu instid0(VALU_DEP_4) | instskip(NEXT) | instid1(VALU_DEP_4)
	v_fma_f64 v[4:5], v[251:252], s[2:3], v[4:5]
	v_fma_f64 v[6:7], v[16:17], s[12:13], v[6:7]
	;; [unrolled: 3-line block ×4, first 2 shown]
	v_fma_f64 v[10:11], v[251:252], s[18:19], v[8:9]
	v_fma_f64 v[22:23], v[16:17], s[16:17], v[27:28]
	;; [unrolled: 1-line block ×4, first 2 shown]
	v_add_f64_e32 v[26:27], v[247:248], v[59:60]
	v_fma_f64 v[10:11], v[237:238], s[12:13], v[10:11]
	v_fma_f64 v[22:23], v[245:246], s[2:3], v[22:23]
	;; [unrolled: 1-line block ×4, first 2 shown]
	s_delay_alu instid0(VALU_DEP_4) | instskip(NEXT) | instid1(VALU_DEP_4)
	v_fma_f64 v[8:9], v[24:25], s[14:15], v[10:11]
	v_fma_f64 v[10:11], v[26:27], s[14:15], v[22:23]
	s_delay_alu instid0(VALU_DEP_4) | instskip(NEXT) | instid1(VALU_DEP_4)
	v_fma_f64 v[195:196], v[24:25], s[14:15], v[28:29]
	v_fma_f64 v[197:198], v[26:27], s[14:15], v[16:17]
	ds_store_b128 v61, v[12:15]
	ds_store_b128 v61, v[8:11] offset:16
	ds_store_b128 v61, v[0:3] offset:32
	;; [unrolled: 1-line block ×4, first 2 shown]
	v_fma_f64 v[4:5], v[53:54], -0.5, v[183:184]
	v_fma_f64 v[6:7], v[57:58], -0.5, v[185:186]
	;; [unrolled: 1-line block ×4, first 2 shown]
	v_add_f64_e32 v[12:13], v[41:42], v[20:21]
	v_add_f64_e32 v[14:15], v[49:50], v[18:19]
	v_add_f64_e32 v[16:17], v[35:36], v[55:56]
	v_add_f64_e32 v[18:19], v[43:44], v[62:63]
	v_fma_f64 v[0:1], v[37:38], s[16:17], v[4:5]
	v_fma_f64 v[2:3], v[45:46], s[18:19], v[6:7]
	;; [unrolled: 1-line block ×4, first 2 shown]
	s_delay_alu instid0(VALU_DEP_4) | instskip(NEXT) | instid1(VALU_DEP_4)
	v_fma_f64 v[0:1], v[47:48], s[12:13], v[0:1]
	v_fma_f64 v[2:3], v[51:52], s[2:3], v[2:3]
	s_delay_alu instid0(VALU_DEP_4) | instskip(NEXT) | instid1(VALU_DEP_4)
	v_fma_f64 v[4:5], v[47:48], s[2:3], v[4:5]
	v_fma_f64 v[6:7], v[51:52], s[12:13], v[6:7]
	s_delay_alu instid0(VALU_DEP_4) | instskip(NEXT) | instid1(VALU_DEP_4)
	v_fma_f64 v[0:1], v[12:13], s[14:15], v[0:1]
	v_fma_f64 v[2:3], v[14:15], s[14:15], v[2:3]
	s_delay_alu instid0(VALU_DEP_4) | instskip(NEXT) | instid1(VALU_DEP_4)
	v_fma_f64 v[4:5], v[12:13], s[14:15], v[4:5]
	v_fma_f64 v[6:7], v[14:15], s[14:15], v[6:7]
	v_fma_f64 v[12:13], v[47:48], s[18:19], v[8:9]
	v_fma_f64 v[14:15], v[51:52], s[16:17], v[10:11]
	;; [unrolled: 1-line block ×4, first 2 shown]
	s_delay_alu instid0(VALU_DEP_4) | instskip(NEXT) | instid1(VALU_DEP_4)
	v_fma_f64 v[12:13], v[37:38], s[12:13], v[12:13]
	v_fma_f64 v[14:15], v[45:46], s[2:3], v[14:15]
	s_delay_alu instid0(VALU_DEP_4) | instskip(NEXT) | instid1(VALU_DEP_4)
	v_fma_f64 v[20:21], v[37:38], s[2:3], v[8:9]
	v_fma_f64 v[22:23], v[45:46], s[12:13], v[10:11]
	;; [unrolled: 3-line block ×4, first 2 shown]
	ds_store_b128 v255, v[191:194]
	ds_store_b128 v255, v[8:11] offset:16
	ds_store_b128 v255, v[0:3] offset:32
	;; [unrolled: 1-line block ×4, first 2 shown]
	global_wb scope:SCOPE_SE
	s_wait_dscnt 0x0
	s_barrier_signal -1
	s_barrier_wait -1
	global_inv scope:SCOPE_SE
	scratch_load_b128 v[6:9], off, off offset:260 th:TH_LOAD_LU ; 16-byte Folded Reload
	ds_load_b128 v[0:3], v182 offset:1200
	s_wait_loadcnt_dscnt 0x0
	v_mul_f64_e32 v[4:5], v[8:9], v[2:3]
	s_delay_alu instid0(VALU_DEP_1) | instskip(SKIP_3) | instid1(VALU_DEP_1)
	v_fma_f64 v[12:13], v[6:7], v[0:1], v[4:5]
	v_mov_b32_e32 v4, v6
	v_dual_mov_b32 v5, v7 :: v_dual_mov_b32 v6, v8
	v_mov_b32_e32 v7, v9
	v_mul_f64_e32 v[0:1], v[6:7], v[0:1]
	scratch_load_b128 v[6:9], off, off offset:244 th:TH_LOAD_LU ; 16-byte Folded Reload
	v_fma_f64 v[14:15], v[4:5], v[2:3], -v[0:1]
	ds_load_b128 v[0:3], v182 offset:2400
	s_wait_dscnt 0x0
	v_mul_f64_e32 v[4:5], v[110:111], v[2:3]
	s_delay_alu instid0(VALU_DEP_1) | instskip(SKIP_1) | instid1(VALU_DEP_1)
	v_fma_f64 v[16:17], v[108:109], v[0:1], v[4:5]
	v_mul_f64_e32 v[0:1], v[110:111], v[0:1]
	v_fma_f64 v[18:19], v[108:109], v[2:3], -v[0:1]
	ds_load_b128 v[0:3], v182 offset:3600
	s_wait_dscnt 0x0
	v_mul_f64_e32 v[4:5], v[94:95], v[2:3]
	s_delay_alu instid0(VALU_DEP_1) | instskip(SKIP_1) | instid1(VALU_DEP_2)
	v_fma_f64 v[20:21], v[92:93], v[0:1], v[4:5]
	v_mul_f64_e32 v[0:1], v[94:95], v[0:1]
	v_add_f64_e64 v[36:37], v[16:17], -v[20:21]
	s_delay_alu instid0(VALU_DEP_2) | instskip(SKIP_4) | instid1(VALU_DEP_2)
	v_fma_f64 v[22:23], v[92:93], v[2:3], -v[0:1]
	ds_load_b128 v[0:3], v182 offset:4800
	s_wait_dscnt 0x0
	v_mul_f64_e32 v[4:5], v[82:83], v[2:3]
	v_add_f64_e64 v[32:33], v[18:19], -v[22:23]
	v_fma_f64 v[24:25], v[80:81], v[0:1], v[4:5]
	v_mul_f64_e32 v[0:1], v[82:83], v[0:1]
	s_delay_alu instid0(VALU_DEP_2) | instskip(NEXT) | instid1(VALU_DEP_2)
	v_add_f64_e64 v[38:39], v[12:13], -v[24:25]
	v_fma_f64 v[26:27], v[80:81], v[2:3], -v[0:1]
	ds_load_b128 v[0:3], v182 offset:1600
	s_wait_dscnt 0x0
	v_mul_f64_e32 v[4:5], v[78:79], v[2:3]
	v_add_f64_e64 v[34:35], v[14:15], -v[26:27]
	s_delay_alu instid0(VALU_DEP_2) | instskip(SKIP_1) | instid1(VALU_DEP_1)
	v_fma_f64 v[80:81], v[76:77], v[0:1], v[4:5]
	v_mul_f64_e32 v[0:1], v[78:79], v[0:1]
	v_fma_f64 v[76:77], v[76:77], v[2:3], -v[0:1]
	ds_load_b128 v[0:3], v182 offset:2800
	s_wait_loadcnt_dscnt 0x0
	v_mul_f64_e32 v[4:5], v[8:9], v[2:3]
	s_delay_alu instid0(VALU_DEP_1) | instskip(SKIP_1) | instid1(VALU_DEP_1)
	v_fma_f64 v[82:83], v[6:7], v[0:1], v[4:5]
	v_mul_f64_e32 v[0:1], v[8:9], v[0:1]
	v_fma_f64 v[92:93], v[6:7], v[2:3], -v[0:1]
	ds_load_b128 v[0:3], v182 offset:4000
	s_wait_dscnt 0x0
	v_mul_f64_e32 v[4:5], v[70:71], v[2:3]
	s_delay_alu instid0(VALU_DEP_1) | instskip(SKIP_1) | instid1(VALU_DEP_1)
	v_fma_f64 v[94:95], v[68:69], v[0:1], v[4:5]
	v_mul_f64_e32 v[0:1], v[70:71], v[0:1]
	v_fma_f64 v[78:79], v[68:69], v[2:3], -v[0:1]
	ds_load_b128 v[0:3], v182 offset:5200
	s_wait_dscnt 0x0
	;; [unrolled: 7-line block ×6, first 2 shown]
	v_mul_f64_e32 v[4:5], v[106:107], v[2:3]
	s_delay_alu instid0(VALU_DEP_1) | instskip(SKIP_2) | instid1(VALU_DEP_2)
	v_fma_f64 v[72:73], v[104:105], v[0:1], v[4:5]
	v_mul_f64_e32 v[0:1], v[106:107], v[0:1]
	v_add_f64_e32 v[4:5], v[12:13], v[24:25]
	v_fma_f64 v[74:75], v[104:105], v[2:3], -v[0:1]
	v_add_f64_e64 v[0:1], v[16:17], -v[12:13]
	v_add_f64_e64 v[2:3], v[20:21], -v[24:25]
	s_delay_alu instid0(VALU_DEP_1) | instskip(SKIP_2) | instid1(VALU_DEP_1)
	v_add_f64_e32 v[8:9], v[0:1], v[2:3]
	v_add_f64_e64 v[0:1], v[18:19], -v[14:15]
	v_add_f64_e64 v[2:3], v[22:23], -v[26:27]
	v_add_f64_e32 v[10:11], v[0:1], v[2:3]
	ds_load_b128 v[0:3], v182
	ds_load_b128 v[96:99], v182 offset:800
	ds_load_b128 v[100:103], v182 offset:400
	global_wb scope:SCOPE_SE
	s_wait_dscnt 0x0
	s_barrier_signal -1
	s_barrier_wait -1
	global_inv scope:SCOPE_SE
	v_fma_f64 v[28:29], v[4:5], -0.5, v[0:1]
	v_add_f64_e32 v[4:5], v[14:15], v[26:27]
	s_delay_alu instid0(VALU_DEP_1) | instskip(NEXT) | instid1(VALU_DEP_3)
	v_fma_f64 v[30:31], v[4:5], -0.5, v[2:3]
	v_fma_f64 v[4:5], v[32:33], s[16:17], v[28:29]
	v_fma_f64 v[28:29], v[32:33], s[18:19], v[28:29]
	s_delay_alu instid0(VALU_DEP_3) | instskip(SKIP_1) | instid1(VALU_DEP_4)
	v_fma_f64 v[6:7], v[36:37], s[18:19], v[30:31]
	v_fma_f64 v[30:31], v[36:37], s[16:17], v[30:31]
	;; [unrolled: 1-line block ×3, first 2 shown]
	s_delay_alu instid0(VALU_DEP_4) | instskip(NEXT) | instid1(VALU_DEP_4)
	v_fma_f64 v[28:29], v[34:35], s[2:3], v[28:29]
	v_fma_f64 v[6:7], v[38:39], s[2:3], v[6:7]
	s_delay_alu instid0(VALU_DEP_4) | instskip(NEXT) | instid1(VALU_DEP_4)
	v_fma_f64 v[30:31], v[38:39], s[12:13], v[30:31]
	v_fma_f64 v[4:5], v[8:9], s[14:15], v[4:5]
	s_delay_alu instid0(VALU_DEP_4) | instskip(SKIP_4) | instid1(VALU_DEP_4)
	v_fma_f64 v[8:9], v[8:9], s[14:15], v[28:29]
	v_add_f64_e32 v[28:29], v[16:17], v[20:21]
	v_fma_f64 v[6:7], v[10:11], s[14:15], v[6:7]
	v_fma_f64 v[10:11], v[10:11], s[14:15], v[30:31]
	v_add_f64_e32 v[30:31], v[18:19], v[22:23]
	v_fma_f64 v[28:29], v[28:29], -0.5, v[0:1]
	v_add_f64_e32 v[0:1], v[0:1], v[12:13]
	v_add_f64_e64 v[12:13], v[12:13], -v[16:17]
	s_delay_alu instid0(VALU_DEP_4) | instskip(SKIP_4) | instid1(VALU_DEP_4)
	v_fma_f64 v[30:31], v[30:31], -0.5, v[2:3]
	v_add_f64_e32 v[2:3], v[2:3], v[14:15]
	v_add_f64_e64 v[14:15], v[14:15], -v[18:19]
	v_add_f64_e32 v[0:1], v[0:1], v[16:17]
	v_add_f64_e64 v[16:17], v[24:25], -v[20:21]
	;; [unrolled: 2-line block ×3, first 2 shown]
	s_delay_alu instid0(VALU_DEP_4)
	v_add_f64_e32 v[0:1], v[0:1], v[20:21]
	v_fma_f64 v[20:21], v[34:35], s[18:19], v[28:29]
	v_add_f64_e32 v[16:17], v[12:13], v[16:17]
	v_add_f64_e32 v[2:3], v[2:3], v[22:23]
	v_fma_f64 v[22:23], v[34:35], s[16:17], v[28:29]
	v_add_f64_e32 v[0:1], v[0:1], v[24:25]
	v_fma_f64 v[24:25], v[38:39], s[16:17], v[30:31]
	;; [unrolled: 2-line block ×3, first 2 shown]
	v_add_f64_e64 v[28:29], v[108:109], -v[94:95]
	v_add_f64_e32 v[2:3], v[2:3], v[26:27]
	v_fma_f64 v[26:27], v[38:39], s[18:19], v[30:31]
	v_fma_f64 v[20:21], v[32:33], s[2:3], v[22:23]
	;; [unrolled: 1-line block ×3, first 2 shown]
	v_add_f64_e64 v[24:25], v[80:81], -v[82:83]
	v_fma_f64 v[12:13], v[16:17], s[14:15], v[12:13]
	v_add_f64_e64 v[30:31], v[110:111], -v[78:79]
	v_fma_f64 v[22:23], v[36:37], s[12:13], v[26:27]
	v_fma_f64 v[88:89], v[16:17], s[14:15], v[20:21]
	;; [unrolled: 1-line block ×3, first 2 shown]
	v_add_f64_e64 v[16:17], v[82:83], -v[94:95]
	v_add_f64_e64 v[26:27], v[76:77], -v[92:93]
	v_fma_f64 v[90:91], v[18:19], s[14:15], v[22:23]
	ds_store_b128 v190, v[0:3]
	ds_store_b128 v190, v[12:15] offset:80
	ds_store_b128 v190, v[4:7] offset:160
	;; [unrolled: 1-line block ×4, first 2 shown]
	v_add_f64_e64 v[0:1], v[82:83], -v[80:81]
	v_add_f64_e64 v[2:3], v[94:95], -v[108:109]
	v_add_f64_e64 v[12:13], v[92:93], -v[78:79]
	v_add_f64_e64 v[14:15], v[76:77], -v[110:111]
	v_add_f64_e64 v[18:19], v[80:81], -v[108:109]
	s_delay_alu instid0(VALU_DEP_4) | instskip(SKIP_2) | instid1(VALU_DEP_1)
	v_add_f64_e32 v[4:5], v[0:1], v[2:3]
	v_add_f64_e64 v[0:1], v[92:93], -v[76:77]
	v_add_f64_e64 v[2:3], v[78:79], -v[110:111]
	v_add_f64_e32 v[6:7], v[0:1], v[2:3]
	v_add_f64_e32 v[0:1], v[80:81], v[108:109]
	s_delay_alu instid0(VALU_DEP_1) | instskip(SKIP_1) | instid1(VALU_DEP_1)
	v_fma_f64 v[8:9], v[0:1], -0.5, v[100:101]
	v_add_f64_e32 v[0:1], v[76:77], v[110:111]
	v_fma_f64 v[10:11], v[0:1], -0.5, v[102:103]
	s_delay_alu instid0(VALU_DEP_3) | instskip(SKIP_1) | instid1(VALU_DEP_3)
	v_fma_f64 v[0:1], v[12:13], s[16:17], v[8:9]
	v_fma_f64 v[8:9], v[12:13], s[18:19], v[8:9]
	;; [unrolled: 1-line block ×3, first 2 shown]
	s_delay_alu instid0(VALU_DEP_3) | instskip(NEXT) | instid1(VALU_DEP_3)
	v_fma_f64 v[0:1], v[14:15], s[12:13], v[0:1]
	v_fma_f64 v[8:9], v[14:15], s[2:3], v[8:9]
	v_fma_f64 v[10:11], v[16:17], s[16:17], v[10:11]
	s_delay_alu instid0(VALU_DEP_4) | instskip(NEXT) | instid1(VALU_DEP_4)
	v_fma_f64 v[2:3], v[18:19], s[2:3], v[2:3]
	v_fma_f64 v[0:1], v[4:5], s[14:15], v[0:1]
	s_delay_alu instid0(VALU_DEP_4) | instskip(SKIP_3) | instid1(VALU_DEP_3)
	v_fma_f64 v[4:5], v[4:5], s[14:15], v[8:9]
	v_add_f64_e32 v[8:9], v[82:83], v[94:95]
	v_fma_f64 v[10:11], v[18:19], s[12:13], v[10:11]
	v_fma_f64 v[2:3], v[6:7], s[14:15], v[2:3]
	v_fma_f64 v[20:21], v[8:9], -0.5, v[100:101]
	v_add_f64_e32 v[8:9], v[92:93], v[78:79]
	s_delay_alu instid0(VALU_DEP_4) | instskip(SKIP_1) | instid1(VALU_DEP_4)
	v_fma_f64 v[6:7], v[6:7], s[14:15], v[10:11]
	v_add_f64_e32 v[10:11], v[102:103], v[76:77]
	v_fma_f64 v[32:33], v[14:15], s[18:19], v[20:21]
	s_delay_alu instid0(VALU_DEP_4) | instskip(SKIP_1) | instid1(VALU_DEP_4)
	v_fma_f64 v[22:23], v[8:9], -0.5, v[102:103]
	v_add_f64_e32 v[8:9], v[100:101], v[80:81]
	v_add_f64_e32 v[10:11], v[10:11], v[92:93]
	v_fma_f64 v[14:15], v[14:15], s[16:17], v[20:21]
	s_delay_alu instid0(VALU_DEP_4) | instskip(NEXT) | instid1(VALU_DEP_4)
	v_fma_f64 v[20:21], v[18:19], s[16:17], v[22:23]
	v_add_f64_e32 v[8:9], v[8:9], v[82:83]
	v_fma_f64 v[18:19], v[18:19], s[18:19], v[22:23]
	v_add_f64_e32 v[10:11], v[10:11], v[78:79]
	v_add_f64_e32 v[22:23], v[24:25], v[28:29]
	;; [unrolled: 1-line block ×3, first 2 shown]
	v_fma_f64 v[26:27], v[12:13], s[12:13], v[32:33]
	v_fma_f64 v[28:29], v[12:13], s[2:3], v[14:15]
	v_add_f64_e64 v[30:31], v[74:75], -v[70:71]
	v_fma_f64 v[14:15], v[16:17], s[2:3], v[20:21]
	v_add_f64_e32 v[8:9], v[8:9], v[94:95]
	v_fma_f64 v[16:17], v[16:17], s[12:13], v[18:19]
	v_add_f64_e32 v[10:11], v[10:11], v[110:111]
	v_add_f64_e64 v[18:19], v[62:63], -v[72:73]
	v_fma_f64 v[12:13], v[22:23], s[14:15], v[26:27]
	v_fma_f64 v[76:77], v[22:23], s[14:15], v[28:29]
	v_add_f64_e64 v[26:27], v[60:61], -v[66:67]
	v_add_f64_e64 v[28:29], v[72:73], -v[68:69]
	v_fma_f64 v[14:15], v[24:25], s[14:15], v[14:15]
	v_add_f64_e32 v[8:9], v[8:9], v[108:109]
	v_fma_f64 v[78:79], v[24:25], s[14:15], v[16:17]
	ds_store_b128 v189, v[8:11]
	ds_store_b128 v189, v[12:15] offset:80
	ds_store_b128 v189, v[0:3] offset:160
	ds_store_b128 v189, v[4:7] offset:240
	ds_store_b128 v189, v[76:79] offset:320
	v_add_f64_e64 v[0:1], v[64:65], -v[62:63]
	v_add_f64_e64 v[2:3], v[68:69], -v[72:73]
	;; [unrolled: 1-line block ×6, first 2 shown]
	v_add_f64_e32 v[4:5], v[0:1], v[2:3]
	v_add_f64_e64 v[0:1], v[66:67], -v[60:61]
	v_add_f64_e64 v[2:3], v[70:71], -v[74:75]
	s_delay_alu instid0(VALU_DEP_1) | instskip(SKIP_1) | instid1(VALU_DEP_1)
	v_add_f64_e32 v[6:7], v[0:1], v[2:3]
	v_add_f64_e32 v[0:1], v[62:63], v[72:73]
	v_fma_f64 v[8:9], v[0:1], -0.5, v[96:97]
	v_add_f64_e32 v[0:1], v[60:61], v[74:75]
	s_delay_alu instid0(VALU_DEP_1) | instskip(NEXT) | instid1(VALU_DEP_3)
	v_fma_f64 v[10:11], v[0:1], -0.5, v[98:99]
	v_fma_f64 v[0:1], v[12:13], s[16:17], v[8:9]
	v_fma_f64 v[8:9], v[12:13], s[18:19], v[8:9]
	s_delay_alu instid0(VALU_DEP_3) | instskip(NEXT) | instid1(VALU_DEP_3)
	v_fma_f64 v[2:3], v[16:17], s[18:19], v[10:11]
	v_fma_f64 v[0:1], v[14:15], s[12:13], v[0:1]
	s_delay_alu instid0(VALU_DEP_3) | instskip(SKIP_1) | instid1(VALU_DEP_4)
	v_fma_f64 v[8:9], v[14:15], s[2:3], v[8:9]
	v_fma_f64 v[10:11], v[16:17], s[16:17], v[10:11]
	;; [unrolled: 1-line block ×3, first 2 shown]
	s_delay_alu instid0(VALU_DEP_4) | instskip(NEXT) | instid1(VALU_DEP_4)
	v_fma_f64 v[0:1], v[4:5], s[14:15], v[0:1]
	v_fma_f64 v[4:5], v[4:5], s[14:15], v[8:9]
	v_add_f64_e32 v[8:9], v[64:65], v[68:69]
	v_fma_f64 v[10:11], v[18:19], s[12:13], v[10:11]
	v_fma_f64 v[2:3], v[6:7], s[14:15], v[2:3]
	s_delay_alu instid0(VALU_DEP_3) | instskip(SKIP_1) | instid1(VALU_DEP_4)
	v_fma_f64 v[20:21], v[8:9], -0.5, v[96:97]
	v_add_f64_e32 v[8:9], v[66:67], v[70:71]
	v_fma_f64 v[6:7], v[6:7], s[14:15], v[10:11]
	v_add_f64_e32 v[10:11], v[98:99], v[60:61]
	s_delay_alu instid0(VALU_DEP_4) | instskip(NEXT) | instid1(VALU_DEP_4)
	v_fma_f64 v[32:33], v[14:15], s[18:19], v[20:21]
	v_fma_f64 v[22:23], v[8:9], -0.5, v[98:99]
	v_add_f64_e32 v[8:9], v[96:97], v[62:63]
	s_delay_alu instid0(VALU_DEP_4) | instskip(SKIP_1) | instid1(VALU_DEP_4)
	v_add_f64_e32 v[10:11], v[10:11], v[66:67]
	v_fma_f64 v[14:15], v[14:15], s[16:17], v[20:21]
	v_fma_f64 v[20:21], v[18:19], s[16:17], v[22:23]
	s_delay_alu instid0(VALU_DEP_4)
	v_add_f64_e32 v[8:9], v[8:9], v[64:65]
	v_fma_f64 v[18:19], v[18:19], s[18:19], v[22:23]
	v_add_f64_e32 v[10:11], v[10:11], v[70:71]
	v_add_f64_e32 v[22:23], v[24:25], v[28:29]
	;; [unrolled: 1-line block ×3, first 2 shown]
	v_fma_f64 v[26:27], v[12:13], s[12:13], v[32:33]
	v_fma_f64 v[28:29], v[12:13], s[2:3], v[14:15]
	;; [unrolled: 1-line block ×3, first 2 shown]
	v_add_f64_e32 v[8:9], v[8:9], v[68:69]
	v_fma_f64 v[16:17], v[16:17], s[12:13], v[18:19]
	v_add_f64_e32 v[10:11], v[10:11], v[74:75]
	v_fma_f64 v[12:13], v[22:23], s[14:15], v[26:27]
	v_fma_f64 v[60:61], v[22:23], s[14:15], v[28:29]
	v_fma_f64 v[14:15], v[24:25], s[14:15], v[14:15]
	v_add_f64_e32 v[8:9], v[8:9], v[72:73]
	v_fma_f64 v[62:63], v[24:25], s[14:15], v[16:17]
	ds_store_b128 v188, v[8:11]
	ds_store_b128 v188, v[12:15] offset:80
	ds_store_b128 v188, v[0:3] offset:160
	;; [unrolled: 1-line block ×4, first 2 shown]
	global_wb scope:SCOPE_SE
	s_wait_dscnt 0x0
	s_barrier_signal -1
	s_barrier_wait -1
	global_inv scope:SCOPE_SE
	ds_load_b128 v[0:3], v182 offset:1200
	ds_load_b128 v[100:103], v182 offset:800
	;; [unrolled: 1-line block ×3, first 2 shown]
	s_wait_dscnt 0x2
	v_mul_f64_e32 v[4:5], v[86:87], v[2:3]
	s_delay_alu instid0(VALU_DEP_1) | instskip(SKIP_1) | instid1(VALU_DEP_1)
	v_fma_f64 v[12:13], v[84:85], v[0:1], v[4:5]
	v_mul_f64_e32 v[0:1], v[86:87], v[0:1]
	v_fma_f64 v[14:15], v[84:85], v[2:3], -v[0:1]
	ds_load_b128 v[0:3], v182 offset:1600
	s_wait_dscnt 0x0
	v_mul_f64_e32 v[4:5], v[86:87], v[2:3]
	s_delay_alu instid0(VALU_DEP_1) | instskip(SKIP_1) | instid1(VALU_DEP_1)
	v_fma_f64 v[16:17], v[84:85], v[0:1], v[4:5]
	v_mul_f64_e32 v[0:1], v[86:87], v[0:1]
	v_fma_f64 v[18:19], v[84:85], v[2:3], -v[0:1]
	ds_load_b128 v[0:3], v182 offset:2400
	s_wait_dscnt 0x0
	v_mul_f64_e32 v[4:5], v[122:123], v[2:3]
	s_delay_alu instid0(VALU_DEP_1) | instskip(SKIP_1) | instid1(VALU_DEP_1)
	v_fma_f64 v[20:21], v[120:121], v[0:1], v[4:5]
	v_mul_f64_e32 v[0:1], v[122:123], v[0:1]
	v_fma_f64 v[22:23], v[120:121], v[2:3], -v[0:1]
	ds_load_b128 v[0:3], v182 offset:2800
	s_wait_dscnt 0x0
	v_mul_f64_e32 v[4:5], v[122:123], v[2:3]
	s_delay_alu instid0(VALU_DEP_1) | instskip(SKIP_1) | instid1(VALU_DEP_1)
	v_fma_f64 v[24:25], v[120:121], v[0:1], v[4:5]
	v_mul_f64_e32 v[0:1], v[122:123], v[0:1]
	v_fma_f64 v[26:27], v[120:121], v[2:3], -v[0:1]
	ds_load_b128 v[0:3], v182 offset:3600
	s_wait_dscnt 0x0
	v_mul_f64_e32 v[4:5], v[118:119], v[2:3]
	s_delay_alu instid0(VALU_DEP_1) | instskip(SKIP_1) | instid1(VALU_DEP_2)
	v_fma_f64 v[28:29], v[116:117], v[0:1], v[4:5]
	v_mul_f64_e32 v[0:1], v[118:119], v[0:1]
	v_add_f64_e64 v[54:55], v[20:21], -v[28:29]
	s_delay_alu instid0(VALU_DEP_2) | instskip(SKIP_4) | instid1(VALU_DEP_2)
	v_fma_f64 v[30:31], v[116:117], v[2:3], -v[0:1]
	ds_load_b128 v[0:3], v182 offset:4000
	s_wait_dscnt 0x0
	v_mul_f64_e32 v[4:5], v[118:119], v[2:3]
	v_add_f64_e64 v[50:51], v[22:23], -v[30:31]
	v_fma_f64 v[32:33], v[116:117], v[0:1], v[4:5]
	v_mul_f64_e32 v[0:1], v[118:119], v[0:1]
	s_delay_alu instid0(VALU_DEP_1) | instskip(SKIP_3) | instid1(VALU_DEP_1)
	v_fma_f64 v[34:35], v[116:117], v[2:3], -v[0:1]
	ds_load_b128 v[0:3], v182 offset:4800
	s_wait_dscnt 0x0
	v_mul_f64_e32 v[4:5], v[114:115], v[0:1]
	v_fma_f64 v[36:37], v[112:113], v[2:3], -v[4:5]
	v_mul_f64_e32 v[2:3], v[114:115], v[2:3]
	s_delay_alu instid0(VALU_DEP_2) | instskip(NEXT) | instid1(VALU_DEP_2)
	v_add_f64_e64 v[48:49], v[14:15], -v[36:37]
	v_fma_f64 v[38:39], v[112:113], v[0:1], v[2:3]
	ds_load_b128 v[0:3], v182 offset:5200
	s_wait_dscnt 0x0
	v_mul_f64_e32 v[4:5], v[114:115], v[2:3]
	v_add_f64_e64 v[52:53], v[12:13], -v[38:39]
	s_delay_alu instid0(VALU_DEP_2) | instskip(SKIP_1) | instid1(VALU_DEP_1)
	v_fma_f64 v[40:41], v[112:113], v[0:1], v[4:5]
	v_mul_f64_e32 v[0:1], v[114:115], v[0:1]
	v_fma_f64 v[42:43], v[112:113], v[2:3], -v[0:1]
	ds_load_b128 v[0:3], v182 offset:2000
	s_wait_dscnt 0x0
	v_mul_f64_e32 v[4:5], v[138:139], v[2:3]
	s_delay_alu instid0(VALU_DEP_1) | instskip(SKIP_1) | instid1(VALU_DEP_1)
	v_fma_f64 v[62:63], v[136:137], v[0:1], v[4:5]
	v_mul_f64_e32 v[0:1], v[138:139], v[0:1]
	v_fma_f64 v[60:61], v[136:137], v[2:3], -v[0:1]
	ds_load_b128 v[0:3], v182 offset:3200
	s_wait_dscnt 0x0
	v_mul_f64_e32 v[4:5], v[130:131], v[2:3]
	s_delay_alu instid0(VALU_DEP_1) | instskip(SKIP_1) | instid1(VALU_DEP_1)
	;; [unrolled: 7-line block ×3, first 2 shown]
	v_fma_f64 v[70:71], v[132:133], v[0:1], v[4:5]
	v_mul_f64_e32 v[0:1], v[134:135], v[0:1]
	v_fma_f64 v[66:67], v[132:133], v[2:3], -v[0:1]
	ds_load_b128 v[0:3], v182 offset:5600
	s_wait_dscnt 0x0
	v_mul_f64_e32 v[4:5], v[142:143], v[2:3]
	s_delay_alu instid0(VALU_DEP_1) | instskip(SKIP_2) | instid1(VALU_DEP_2)
	v_fma_f64 v[72:73], v[140:141], v[0:1], v[4:5]
	v_mul_f64_e32 v[0:1], v[142:143], v[0:1]
	v_add_f64_e32 v[4:5], v[20:21], v[28:29]
	v_fma_f64 v[74:75], v[140:141], v[2:3], -v[0:1]
	v_add_f64_e64 v[0:1], v[12:13], -v[20:21]
	v_add_f64_e64 v[2:3], v[38:39], -v[28:29]
	s_delay_alu instid0(VALU_DEP_1) | instskip(SKIP_2) | instid1(VALU_DEP_1)
	v_add_f64_e32 v[8:9], v[0:1], v[2:3]
	v_add_f64_e64 v[0:1], v[14:15], -v[22:23]
	v_add_f64_e64 v[2:3], v[36:37], -v[30:31]
	v_add_f64_e32 v[10:11], v[0:1], v[2:3]
	ds_load_b128 v[0:3], v182
	global_wb scope:SCOPE_SE
	s_wait_dscnt 0x0
	s_barrier_signal -1
	s_barrier_wait -1
	global_inv scope:SCOPE_SE
	v_fma_f64 v[44:45], v[4:5], -0.5, v[0:1]
	v_add_f64_e32 v[4:5], v[22:23], v[30:31]
	s_delay_alu instid0(VALU_DEP_1) | instskip(NEXT) | instid1(VALU_DEP_3)
	v_fma_f64 v[46:47], v[4:5], -0.5, v[2:3]
	v_fma_f64 v[4:5], v[48:49], s[18:19], v[44:45]
	v_fma_f64 v[44:45], v[48:49], s[16:17], v[44:45]
	s_delay_alu instid0(VALU_DEP_3) | instskip(SKIP_1) | instid1(VALU_DEP_4)
	v_fma_f64 v[6:7], v[52:53], s[16:17], v[46:47]
	v_fma_f64 v[46:47], v[52:53], s[18:19], v[46:47]
	;; [unrolled: 1-line block ×3, first 2 shown]
	s_delay_alu instid0(VALU_DEP_4) | instskip(NEXT) | instid1(VALU_DEP_4)
	v_fma_f64 v[44:45], v[50:51], s[2:3], v[44:45]
	v_fma_f64 v[6:7], v[54:55], s[2:3], v[6:7]
	s_delay_alu instid0(VALU_DEP_4) | instskip(NEXT) | instid1(VALU_DEP_4)
	v_fma_f64 v[46:47], v[54:55], s[12:13], v[46:47]
	v_fma_f64 v[4:5], v[8:9], s[14:15], v[4:5]
	s_delay_alu instid0(VALU_DEP_4) | instskip(SKIP_4) | instid1(VALU_DEP_4)
	v_fma_f64 v[8:9], v[8:9], s[14:15], v[44:45]
	v_add_f64_e32 v[44:45], v[12:13], v[38:39]
	v_fma_f64 v[6:7], v[10:11], s[14:15], v[6:7]
	v_fma_f64 v[10:11], v[10:11], s[14:15], v[46:47]
	v_add_f64_e32 v[46:47], v[14:15], v[36:37]
	v_fma_f64 v[44:45], v[44:45], -0.5, v[0:1]
	v_add_f64_e32 v[0:1], v[0:1], v[12:13]
	v_add_f64_e64 v[12:13], v[20:21], -v[12:13]
	s_delay_alu instid0(VALU_DEP_4) | instskip(SKIP_4) | instid1(VALU_DEP_4)
	v_fma_f64 v[46:47], v[46:47], -0.5, v[2:3]
	v_add_f64_e32 v[2:3], v[2:3], v[14:15]
	v_add_f64_e64 v[14:15], v[22:23], -v[14:15]
	v_add_f64_e32 v[0:1], v[0:1], v[20:21]
	v_add_f64_e64 v[20:21], v[28:29], -v[38:39]
	;; [unrolled: 2-line block ×3, first 2 shown]
	s_delay_alu instid0(VALU_DEP_4)
	v_add_f64_e32 v[0:1], v[0:1], v[28:29]
	v_fma_f64 v[28:29], v[50:51], s[16:17], v[44:45]
	v_add_f64_e32 v[20:21], v[12:13], v[20:21]
	v_add_f64_e32 v[2:3], v[2:3], v[30:31]
	v_fma_f64 v[30:31], v[50:51], s[18:19], v[44:45]
	v_add_f64_e32 v[0:1], v[0:1], v[38:39]
	v_fma_f64 v[38:39], v[54:55], s[16:17], v[46:47]
	;; [unrolled: 2-line block ×4, first 2 shown]
	v_fma_f64 v[28:29], v[48:49], s[2:3], v[30:31]
	v_fma_f64 v[30:31], v[52:53], s[12:13], v[38:39]
	v_add_f64_e64 v[46:47], v[16:17], -v[40:41]
	v_fma_f64 v[12:13], v[20:21], s[14:15], v[12:13]
	v_add_f64_e64 v[38:39], v[26:27], -v[34:35]
	v_add_f64_e64 v[48:49], v[24:25], -v[32:33]
	v_fma_f64 v[14:15], v[52:53], s[2:3], v[36:37]
	v_fma_f64 v[76:77], v[20:21], s[14:15], v[28:29]
	;; [unrolled: 1-line block ×3, first 2 shown]
	v_add_f64_e64 v[20:21], v[16:17], -v[24:25]
	v_add_f64_e64 v[28:29], v[42:43], -v[34:35]
	v_add_f64_e32 v[30:31], v[26:27], v[34:35]
	v_add_f64_e64 v[36:37], v[18:19], -v[42:43]
	v_fma_f64 v[14:15], v[22:23], s[14:15], v[14:15]
	v_add_f64_e64 v[22:23], v[40:41], -v[32:33]
	s_delay_alu instid0(VALU_DEP_4) | instskip(NEXT) | instid1(VALU_DEP_2)
	v_fma_f64 v[30:31], v[30:31], -0.5, v[82:83]
	v_add_f64_e32 v[20:21], v[20:21], v[22:23]
	v_add_f64_e64 v[22:23], v[18:19], -v[26:27]
	s_delay_alu instid0(VALU_DEP_3) | instskip(SKIP_1) | instid1(VALU_DEP_3)
	v_fma_f64 v[50:51], v[46:47], s[16:17], v[30:31]
	v_fma_f64 v[30:31], v[46:47], s[18:19], v[30:31]
	v_add_f64_e32 v[22:23], v[22:23], v[28:29]
	v_add_f64_e32 v[28:29], v[24:25], v[32:33]
	s_delay_alu instid0(VALU_DEP_4) | instskip(NEXT) | instid1(VALU_DEP_4)
	v_fma_f64 v[50:51], v[48:49], s[2:3], v[50:51]
	v_fma_f64 v[30:31], v[48:49], s[12:13], v[30:31]
	s_delay_alu instid0(VALU_DEP_3) | instskip(NEXT) | instid1(VALU_DEP_3)
	v_fma_f64 v[28:29], v[28:29], -0.5, v[80:81]
	v_fma_f64 v[86:87], v[22:23], s[14:15], v[50:51]
	s_delay_alu instid0(VALU_DEP_3)
	v_fma_f64 v[90:91], v[22:23], s[14:15], v[30:31]
	v_add_f64_e32 v[30:31], v[82:83], v[18:19]
	v_add_f64_e32 v[22:23], v[18:19], v[42:43]
	v_add_f64_e64 v[18:19], v[26:27], -v[18:19]
	v_fma_f64 v[44:45], v[36:37], s[18:19], v[28:29]
	v_fma_f64 v[28:29], v[36:37], s[16:17], v[28:29]
	s_delay_alu instid0(VALU_DEP_4) | instskip(NEXT) | instid1(VALU_DEP_3)
	v_fma_f64 v[22:23], v[22:23], -0.5, v[82:83]
	v_fma_f64 v[44:45], v[38:39], s[12:13], v[44:45]
	s_delay_alu instid0(VALU_DEP_3) | instskip(NEXT) | instid1(VALU_DEP_2)
	v_fma_f64 v[28:29], v[38:39], s[2:3], v[28:29]
	v_fma_f64 v[84:85], v[20:21], s[14:15], v[44:45]
	s_delay_alu instid0(VALU_DEP_2) | instskip(SKIP_3) | instid1(VALU_DEP_3)
	v_fma_f64 v[88:89], v[20:21], s[14:15], v[28:29]
	v_add_f64_e32 v[28:29], v[80:81], v[16:17]
	v_add_f64_e32 v[20:21], v[16:17], v[40:41]
	v_add_f64_e64 v[16:17], v[24:25], -v[16:17]
	v_add_f64_e32 v[24:25], v[28:29], v[24:25]
	v_add_f64_e32 v[28:29], v[30:31], v[26:27]
	s_delay_alu instid0(VALU_DEP_4)
	v_fma_f64 v[20:21], v[20:21], -0.5, v[80:81]
	v_fma_f64 v[30:31], v[48:49], s[18:19], v[22:23]
	v_fma_f64 v[22:23], v[48:49], s[16:17], v[22:23]
	v_add_f64_e32 v[24:25], v[24:25], v[32:33]
	v_add_f64_e32 v[26:27], v[28:29], v[34:35]
	v_add_f64_e64 v[28:29], v[32:33], -v[40:41]
	v_add_f64_e64 v[32:33], v[62:63], -v[72:73]
	v_fma_f64 v[22:23], v[46:47], s[12:13], v[22:23]
	v_add_f64_e32 v[80:81], v[24:25], v[40:41]
	v_add_f64_e32 v[82:83], v[26:27], v[42:43]
	v_add_f64_e64 v[24:25], v[34:35], -v[42:43]
	v_fma_f64 v[26:27], v[38:39], s[16:17], v[20:21]
	v_fma_f64 v[20:21], v[38:39], s[18:19], v[20:21]
	v_add_f64_e32 v[16:17], v[16:17], v[28:29]
	s_delay_alu instid0(VALU_DEP_4) | instskip(NEXT) | instid1(VALU_DEP_4)
	v_add_f64_e32 v[18:19], v[18:19], v[24:25]
	v_fma_f64 v[24:25], v[36:37], s[12:13], v[26:27]
	s_delay_alu instid0(VALU_DEP_4)
	v_fma_f64 v[20:21], v[36:37], s[2:3], v[20:21]
	v_fma_f64 v[26:27], v[46:47], s[2:3], v[30:31]
	v_add_f64_e64 v[30:31], v[64:65], -v[70:71]
	v_add_f64_e64 v[36:37], v[72:73], -v[70:71]
	v_fma_f64 v[98:99], v[18:19], s[14:15], v[22:23]
	v_fma_f64 v[92:93], v[16:17], s[14:15], v[24:25]
	;; [unrolled: 1-line block ×4, first 2 shown]
	v_add_f64_e64 v[16:17], v[64:65], -v[62:63]
	v_add_f64_e64 v[18:19], v[70:71], -v[72:73]
	;; [unrolled: 1-line block ×3, first 2 shown]
	v_add_f64_e32 v[22:23], v[60:61], v[74:75]
	v_add_f64_e64 v[24:25], v[68:69], -v[66:67]
	v_add_f64_e64 v[26:27], v[60:61], -v[74:75]
	v_add_f64_e32 v[16:17], v[16:17], v[18:19]
	v_add_f64_e64 v[18:19], v[68:69], -v[60:61]
	v_fma_f64 v[22:23], v[22:23], -0.5, v[102:103]
	s_delay_alu instid0(VALU_DEP_2) | instskip(SKIP_1) | instid1(VALU_DEP_3)
	v_add_f64_e32 v[18:19], v[18:19], v[20:21]
	v_add_f64_e32 v[20:21], v[62:63], v[72:73]
	v_fma_f64 v[34:35], v[30:31], s[18:19], v[22:23]
	v_fma_f64 v[22:23], v[30:31], s[16:17], v[22:23]
	s_delay_alu instid0(VALU_DEP_3) | instskip(NEXT) | instid1(VALU_DEP_3)
	v_fma_f64 v[20:21], v[20:21], -0.5, v[100:101]
	v_fma_f64 v[34:35], v[32:33], s[2:3], v[34:35]
	s_delay_alu instid0(VALU_DEP_3) | instskip(NEXT) | instid1(VALU_DEP_3)
	v_fma_f64 v[22:23], v[32:33], s[12:13], v[22:23]
	v_fma_f64 v[28:29], v[24:25], s[16:17], v[20:21]
	v_fma_f64 v[20:21], v[24:25], s[18:19], v[20:21]
	s_delay_alu instid0(VALU_DEP_3)
	v_fma_f64 v[110:111], v[18:19], s[14:15], v[22:23]
	v_add_f64_e32 v[22:23], v[102:103], v[60:61]
	v_fma_f64 v[106:107], v[18:19], s[14:15], v[34:35]
	v_add_f64_e32 v[18:19], v[68:69], v[66:67]
	v_add_f64_e64 v[34:35], v[60:61], -v[68:69]
	v_fma_f64 v[28:29], v[26:27], s[12:13], v[28:29]
	v_fma_f64 v[20:21], v[26:27], s[2:3], v[20:21]
	v_add_f64_e32 v[22:23], v[22:23], v[68:69]
	v_fma_f64 v[18:19], v[18:19], -0.5, v[102:103]
	s_delay_alu instid0(VALU_DEP_4) | instskip(NEXT) | instid1(VALU_DEP_4)
	v_fma_f64 v[104:105], v[16:17], s[14:15], v[28:29]
	v_fma_f64 v[108:109], v[16:17], s[14:15], v[20:21]
	v_add_f64_e32 v[20:21], v[100:101], v[62:63]
	v_add_f64_e32 v[16:17], v[64:65], v[70:71]
	;; [unrolled: 1-line block ×3, first 2 shown]
	v_add_f64_e64 v[28:29], v[62:63], -v[64:65]
	s_delay_alu instid0(VALU_DEP_4) | instskip(NEXT) | instid1(VALU_DEP_4)
	v_add_f64_e32 v[20:21], v[20:21], v[64:65]
	v_fma_f64 v[16:17], v[16:17], -0.5, v[100:101]
	s_delay_alu instid0(VALU_DEP_4) | instskip(NEXT) | instid1(VALU_DEP_4)
	v_add_f64_e32 v[62:63], v[22:23], v[74:75]
	v_add_f64_e32 v[28:29], v[28:29], v[36:37]
	s_delay_alu instid0(VALU_DEP_4) | instskip(NEXT) | instid1(VALU_DEP_4)
	v_add_f64_e32 v[20:21], v[20:21], v[70:71]
	v_fma_f64 v[22:23], v[26:27], s[18:19], v[16:17]
	v_fma_f64 v[16:17], v[26:27], s[16:17], v[16:17]
	;; [unrolled: 1-line block ×4, first 2 shown]
	v_add_f64_e32 v[60:61], v[20:21], v[72:73]
	v_add_f64_e64 v[20:21], v[74:75], -v[66:67]
	v_fma_f64 v[22:23], v[24:25], s[12:13], v[22:23]
	v_fma_f64 v[16:17], v[24:25], s[2:3], v[16:17]
	;; [unrolled: 1-line block ×4, first 2 shown]
	s_mul_u64 s[2:3], s[4:5], 0x4b0
	v_add_f64_e32 v[20:21], v[34:35], v[20:21]
	v_fma_f64 v[64:65], v[28:29], s[14:15], v[22:23]
	v_fma_f64 v[68:69], v[28:29], s[14:15], v[16:17]
	s_delay_alu instid0(VALU_DEP_3)
	v_fma_f64 v[66:67], v[20:21], s[14:15], v[24:25]
	v_fma_f64 v[70:71], v[20:21], s[14:15], v[18:19]
	ds_store_b128 v182, v[0:3]
	ds_store_b128 v182, v[80:83] offset:2000
	ds_store_b128 v182, v[4:7] offset:400
	;; [unrolled: 1-line block ×14, first 2 shown]
	global_wb scope:SCOPE_SE
	s_wait_dscnt 0x0
	s_barrier_signal -1
	s_barrier_wait -1
	global_inv scope:SCOPE_SE
	ds_load_b128 v[0:3], v182 offset:2000
	ds_load_b128 v[88:91], v182 offset:1600
	;; [unrolled: 1-line block ×4, first 2 shown]
	s_wait_dscnt 0x3
	v_mul_f64_e32 v[4:5], v[126:127], v[2:3]
	s_delay_alu instid0(VALU_DEP_1) | instskip(SKIP_1) | instid1(VALU_DEP_1)
	v_fma_f64 v[4:5], v[124:125], v[0:1], v[4:5]
	v_mul_f64_e32 v[0:1], v[126:127], v[0:1]
	v_fma_f64 v[6:7], v[124:125], v[2:3], -v[0:1]
	ds_load_b128 v[0:3], v182 offset:4000
	s_wait_dscnt 0x0
	v_mul_f64_e32 v[8:9], v[146:147], v[2:3]
	s_delay_alu instid0(VALU_DEP_1) | instskip(SKIP_1) | instid1(VALU_DEP_1)
	v_fma_f64 v[8:9], v[144:145], v[0:1], v[8:9]
	v_mul_f64_e32 v[0:1], v[146:147], v[0:1]
	v_fma_f64 v[10:11], v[144:145], v[2:3], -v[0:1]
	ds_load_b128 v[0:3], v182 offset:2400
	s_wait_dscnt 0x0
	v_mul_f64_e32 v[12:13], v[150:151], v[2:3]
	v_add_f64_e32 v[14:15], v[6:7], v[10:11]
	s_delay_alu instid0(VALU_DEP_2) | instskip(SKIP_1) | instid1(VALU_DEP_1)
	v_fma_f64 v[16:17], v[148:149], v[0:1], v[12:13]
	v_mul_f64_e32 v[0:1], v[150:151], v[0:1]
	v_fma_f64 v[18:19], v[148:149], v[2:3], -v[0:1]
	ds_load_b128 v[0:3], v182 offset:4400
	s_wait_dscnt 0x0
	v_mul_f64_e32 v[12:13], v[154:155], v[2:3]
	s_delay_alu instid0(VALU_DEP_1) | instskip(SKIP_1) | instid1(VALU_DEP_2)
	v_fma_f64 v[20:21], v[152:153], v[0:1], v[12:13]
	v_mul_f64_e32 v[0:1], v[154:155], v[0:1]
	v_add_f64_e32 v[48:49], v[16:17], v[20:21]
	s_delay_alu instid0(VALU_DEP_2) | instskip(SKIP_4) | instid1(VALU_DEP_2)
	v_fma_f64 v[22:23], v[152:153], v[2:3], -v[0:1]
	ds_load_b128 v[0:3], v182 offset:2800
	s_wait_dscnt 0x0
	v_mul_f64_e32 v[12:13], v[158:159], v[2:3]
	v_add_f64_e32 v[50:51], v[18:19], v[22:23]
	v_fma_f64 v[24:25], v[156:157], v[0:1], v[12:13]
	v_mul_f64_e32 v[0:1], v[158:159], v[0:1]
	s_delay_alu instid0(VALU_DEP_1) | instskip(SKIP_3) | instid1(VALU_DEP_1)
	v_fma_f64 v[26:27], v[156:157], v[2:3], -v[0:1]
	ds_load_b128 v[0:3], v182 offset:4800
	s_wait_dscnt 0x0
	v_mul_f64_e32 v[12:13], v[162:163], v[2:3]
	v_fma_f64 v[28:29], v[160:161], v[0:1], v[12:13]
	v_mul_f64_e32 v[0:1], v[162:163], v[0:1]
	s_delay_alu instid0(VALU_DEP_1) | instskip(SKIP_3) | instid1(VALU_DEP_1)
	v_fma_f64 v[30:31], v[160:161], v[2:3], -v[0:1]
	ds_load_b128 v[0:3], v182 offset:3200
	s_wait_dscnt 0x0
	v_mul_f64_e32 v[12:13], v[166:167], v[2:3]
	;; [unrolled: 7-line block ×5, first 2 shown]
	v_fma_f64 v[44:45], v[176:177], v[0:1], v[12:13]
	v_mul_f64_e32 v[0:1], v[178:179], v[0:1]
	v_add_f64_e32 v[12:13], v[4:5], v[8:9]
	s_delay_alu instid0(VALU_DEP_2)
	v_fma_f64 v[46:47], v[176:177], v[2:3], -v[0:1]
	ds_load_b128 v[0:3], v182
	s_wait_dscnt 0x0
	v_fma_f64 v[14:15], v[14:15], -0.5, v[2:3]
	v_add_f64_e32 v[2:3], v[2:3], v[6:7]
	v_fma_f64 v[12:13], v[12:13], -0.5, v[0:1]
	v_add_f64_e32 v[0:1], v[0:1], v[4:5]
	v_add_f64_e64 v[6:7], v[6:7], -v[10:11]
	s_delay_alu instid0(VALU_DEP_4) | instskip(SKIP_1) | instid1(VALU_DEP_4)
	v_add_f64_e32 v[2:3], v[2:3], v[10:11]
	v_add_f64_e64 v[10:11], v[4:5], -v[8:9]
	v_add_f64_e32 v[0:1], v[0:1], v[8:9]
	s_delay_alu instid0(VALU_DEP_4) | instskip(SKIP_1) | instid1(VALU_DEP_4)
	v_fma_f64 v[4:5], v[6:7], s[20:21], v[12:13]
	v_fma_f64 v[8:9], v[6:7], s[10:11], v[12:13]
	;; [unrolled: 1-line block ×4, first 2 shown]
	ds_load_b128 v[12:15], v182 offset:400
	s_wait_dscnt 0x0
	v_fma_f64 v[48:49], v[48:49], -0.5, v[12:13]
	v_add_f64_e32 v[12:13], v[12:13], v[16:17]
	v_fma_f64 v[50:51], v[50:51], -0.5, v[14:15]
	v_add_f64_e32 v[14:15], v[14:15], v[18:19]
	v_add_f64_e64 v[18:19], v[18:19], -v[22:23]
	s_delay_alu instid0(VALU_DEP_4) | instskip(SKIP_1) | instid1(VALU_DEP_4)
	v_add_f64_e32 v[12:13], v[12:13], v[20:21]
	v_add_f64_e64 v[20:21], v[16:17], -v[20:21]
	v_add_f64_e32 v[14:15], v[14:15], v[22:23]
	s_delay_alu instid0(VALU_DEP_4)
	v_fma_f64 v[16:17], v[18:19], s[20:21], v[48:49]
	v_fma_f64 v[60:61], v[18:19], s[10:11], v[48:49]
	v_add_f64_e32 v[22:23], v[26:27], v[30:31]
	v_add_f64_e32 v[48:49], v[66:67], v[26:27]
	v_add_f64_e64 v[26:27], v[26:27], -v[30:31]
	v_fma_f64 v[18:19], v[20:21], s[10:11], v[50:51]
	v_fma_f64 v[62:63], v[20:21], s[20:21], v[50:51]
	v_add_f64_e32 v[20:21], v[24:25], v[28:29]
	v_add_f64_e32 v[50:51], v[64:65], v[24:25]
	v_fma_f64 v[22:23], v[22:23], -0.5, v[66:67]
	v_add_f64_e64 v[24:25], v[24:25], -v[28:29]
	v_add_f64_e32 v[66:67], v[48:49], v[30:31]
	v_fma_f64 v[20:21], v[20:21], -0.5, v[64:65]
	v_add_f64_e32 v[64:65], v[50:51], v[28:29]
	v_add_f64_e64 v[28:29], v[34:35], -v[38:39]
	v_fma_f64 v[70:71], v[24:25], s[10:11], v[22:23]
	v_fma_f64 v[74:75], v[24:25], s[20:21], v[22:23]
	v_add_f64_e32 v[22:23], v[34:35], v[38:39]
	v_add_f64_e32 v[24:25], v[78:79], v[34:35]
	v_fma_f64 v[68:69], v[26:27], s[20:21], v[20:21]
	v_fma_f64 v[72:73], v[26:27], s[10:11], v[20:21]
	v_add_f64_e32 v[20:21], v[32:33], v[36:37]
	v_add_f64_e32 v[26:27], v[76:77], v[32:33]
	v_fma_f64 v[22:23], v[22:23], -0.5, v[78:79]
	v_add_f64_e32 v[78:79], v[24:25], v[38:39]
	v_add_f64_e64 v[24:25], v[32:33], -v[36:37]
	v_fma_f64 v[20:21], v[20:21], -0.5, v[76:77]
	v_add_f64_e32 v[76:77], v[26:27], v[36:37]
	v_add_f64_e32 v[26:27], v[88:89], v[40:41]
	s_delay_alu instid0(VALU_DEP_4)
	v_fma_f64 v[82:83], v[24:25], s[10:11], v[22:23]
	v_fma_f64 v[86:87], v[24:25], s[20:21], v[22:23]
	v_add_f64_e32 v[22:23], v[42:43], v[46:47]
	v_add_f64_e32 v[24:25], v[90:91], v[42:43]
	v_fma_f64 v[80:81], v[28:29], s[20:21], v[20:21]
	v_fma_f64 v[84:85], v[28:29], s[10:11], v[20:21]
	v_add_f64_e32 v[20:21], v[40:41], v[44:45]
	v_add_f64_e64 v[28:29], v[42:43], -v[46:47]
	v_fma_f64 v[22:23], v[22:23], -0.5, v[90:91]
	v_add_f64_e32 v[90:91], v[24:25], v[46:47]
	v_add_f64_e64 v[24:25], v[40:41], -v[44:45]
	v_fma_f64 v[20:21], v[20:21], -0.5, v[88:89]
	v_add_f64_e32 v[88:89], v[26:27], v[44:45]
	s_delay_alu instid0(VALU_DEP_3) | instskip(SKIP_1) | instid1(VALU_DEP_4)
	v_fma_f64 v[94:95], v[24:25], s[10:11], v[22:23]
	v_fma_f64 v[98:99], v[24:25], s[20:21], v[22:23]
	;; [unrolled: 1-line block ×4, first 2 shown]
	ds_store_b128 v182, v[0:3]
	ds_store_b128 v182, v[12:15] offset:400
	ds_store_b128 v182, v[64:67] offset:800
	;; [unrolled: 1-line block ×14, first 2 shown]
	global_wb scope:SCOPE_SE
	s_wait_dscnt 0x0
	s_barrier_signal -1
	s_barrier_wait -1
	global_inv scope:SCOPE_SE
	s_clause 0x4
	scratch_load_b128 v[6:9], off, off offset:224 th:TH_LOAD_LU
	scratch_load_b128 v[10:13], off, off th:TH_LOAD_LU
	scratch_load_b128 v[14:17], off, off offset:16 th:TH_LOAD_LU
	scratch_load_b128 v[18:21], off, off offset:32 th:TH_LOAD_LU
	;; [unrolled: 1-line block ×3, first 2 shown]
	ds_load_b128 v[0:3], v182
	s_clause 0x9
	scratch_load_b128 v[26:29], off, off offset:64 th:TH_LOAD_LU
	scratch_load_b128 v[30:33], off, off offset:80 th:TH_LOAD_LU
	;; [unrolled: 1-line block ×10, first 2 shown]
	s_wait_loadcnt_dscnt 0xe00
	v_mul_f64_e32 v[4:5], v[8:9], v[2:3]
	s_delay_alu instid0(VALU_DEP_1) | instskip(SKIP_1) | instid1(VALU_DEP_1)
	v_fma_f64 v[4:5], v[6:7], v[0:1], v[4:5]
	v_mul_f64_e32 v[0:1], v[8:9], v[0:1]
	v_fma_f64 v[6:7], v[6:7], v[2:3], -v[0:1]
	ds_load_b128 v[0:3], v182 offset:1200
	s_wait_loadcnt_dscnt 0xd00
	v_mul_f64_e32 v[8:9], v[12:13], v[2:3]
	s_delay_alu instid0(VALU_DEP_1) | instskip(SKIP_1) | instid1(VALU_DEP_1)
	v_fma_f64 v[8:9], v[10:11], v[0:1], v[8:9]
	v_mul_f64_e32 v[0:1], v[12:13], v[0:1]
	v_fma_f64 v[10:11], v[10:11], v[2:3], -v[0:1]
	ds_load_b128 v[0:3], v182 offset:2400
	;; [unrolled: 7-line block ×14, first 2 shown]
	s_wait_loadcnt_dscnt 0x0
	v_mul_f64_e32 v[60:61], v[64:65], v[2:3]
	s_delay_alu instid0(VALU_DEP_1) | instskip(SKIP_4) | instid1(VALU_DEP_1)
	v_fma_f64 v[60:61], v[62:63], v[0:1], v[60:61]
	v_mul_f64_e32 v[0:1], v[64:65], v[0:1]
	scratch_load_b32 v64, off, off offset:240 th:TH_LOAD_LU ; 4-byte Folded Reload
	v_fma_f64 v[62:63], v[62:63], v[2:3], -v[0:1]
	v_mad_co_u64_u32 v[0:1], null, s6, v180, 0
	v_mad_co_u64_u32 v[1:2], null, s7, v180, v[1:2]
	s_delay_alu instid0(VALU_DEP_1) | instskip(SKIP_2) | instid1(VALU_DEP_1)
	v_lshlrev_b64_e32 v[0:1], 4, v[0:1]
	s_wait_loadcnt 0x0
	v_mad_co_u64_u32 v[2:3], null, s4, v64, 0
	v_mad_co_u64_u32 v[64:65], null, s5, v64, v[3:4]
	s_mulk_i32 s5, 0xeed0
	s_wait_alu 0xfffe
	s_sub_co_i32 s5, s5, s4
	s_delay_alu instid0(VALU_DEP_1) | instskip(SKIP_3) | instid1(VALU_DEP_3)
	v_mov_b32_e32 v3, v64
	v_add_co_u32 v64, vcc_lo, s0, v0
	s_wait_alu 0xfffd
	v_add_co_ci_u32_e32 v65, vcc_lo, s1, v1, vcc_lo
	v_lshlrev_b64_e32 v[0:1], 4, v[2:3]
	s_mov_b32 s0, 0xc3ece2a5
	s_mov_b32 s1, 0x3f65d867
	s_wait_alu 0xfffe
	v_mul_f64_e32 v[2:3], s[0:1], v[6:7]
	v_mul_f64_e32 v[6:7], s[0:1], v[38:39]
	v_add_co_u32 v64, vcc_lo, v64, v0
	s_wait_alu 0xfffd
	v_add_co_ci_u32_e32 v65, vcc_lo, v65, v1, vcc_lo
	v_mul_f64_e32 v[0:1], s[0:1], v[4:5]
	s_delay_alu instid0(VALU_DEP_3) | instskip(SKIP_1) | instid1(VALU_DEP_3)
	v_add_co_u32 v4, vcc_lo, v64, s2
	s_wait_alu 0xfffd
	v_add_co_ci_u32_e32 v5, vcc_lo, s3, v65, vcc_lo
	global_store_b128 v[64:65], v[0:3], off
	v_mul_f64_e32 v[0:1], s[0:1], v[8:9]
	v_mul_f64_e32 v[2:3], s[0:1], v[10:11]
	;; [unrolled: 1-line block ×3, first 2 shown]
	global_store_b128 v[4:5], v[0:3], off
	v_mul_f64_e32 v[0:1], s[0:1], v[12:13]
	v_mul_f64_e32 v[2:3], s[0:1], v[14:15]
	v_add_co_u32 v4, vcc_lo, v4, s2
	s_wait_alu 0xfffd
	v_add_co_ci_u32_e32 v5, vcc_lo, s3, v5, vcc_lo
	v_mul_f64_e32 v[12:13], s[0:1], v[48:49]
	v_mul_f64_e32 v[14:15], s[0:1], v[50:51]
	global_store_b128 v[4:5], v[0:3], off
	v_mul_f64_e32 v[0:1], s[0:1], v[16:17]
	v_mul_f64_e32 v[2:3], s[0:1], v[18:19]
	v_add_co_u32 v4, vcc_lo, v4, s2
	s_wait_alu 0xfffd
	v_add_co_ci_u32_e32 v5, vcc_lo, s3, v5, vcc_lo
	v_mul_f64_e32 v[16:17], s[0:1], v[52:53]
	v_mul_f64_e32 v[18:19], s[0:1], v[54:55]
	;; [unrolled: 8-line block ×3, first 2 shown]
	global_store_b128 v[4:5], v[0:3], off
	v_mul_f64_e32 v[0:1], s[0:1], v[24:25]
	v_mul_f64_e32 v[2:3], s[0:1], v[26:27]
	v_mad_co_u64_u32 v[4:5], null, 0xffffeed0, s4, v[4:5]
	v_mul_f64_e32 v[24:25], s[0:1], v[60:61]
	v_mul_f64_e32 v[26:27], s[0:1], v[62:63]
	s_delay_alu instid0(VALU_DEP_3)
	v_add_nc_u32_e32 v5, s5, v5
	global_store_b128 v[4:5], v[0:3], off
	v_mul_f64_e32 v[0:1], s[0:1], v[28:29]
	v_mul_f64_e32 v[2:3], s[0:1], v[30:31]
	v_add_co_u32 v4, vcc_lo, v4, s2
	s_wait_alu 0xfffd
	v_add_co_ci_u32_e32 v5, vcc_lo, s3, v5, vcc_lo
	s_delay_alu instid0(VALU_DEP_2) | instskip(SKIP_1) | instid1(VALU_DEP_2)
	v_add_co_u32 v8, vcc_lo, v4, s2
	s_wait_alu 0xfffd
	v_add_co_ci_u32_e32 v9, vcc_lo, s3, v5, vcc_lo
	s_delay_alu instid0(VALU_DEP_2) | instskip(SKIP_1) | instid1(VALU_DEP_2)
	;; [unrolled: 4-line block ×3, first 2 shown]
	v_add_co_u32 v30, vcc_lo, v28, s2
	s_wait_alu 0xfffd
	v_add_co_ci_u32_e32 v31, vcc_lo, s3, v29, vcc_lo
	global_store_b128 v[4:5], v[0:3], off
	v_mul_f64_e32 v[0:1], s[0:1], v[32:33]
	v_mul_f64_e32 v[2:3], s[0:1], v[34:35]
	v_mul_f64_e32 v[4:5], s[0:1], v[36:37]
	v_mad_co_u64_u32 v[32:33], null, 0xffffeed0, s4, v[30:31]
	s_delay_alu instid0(VALU_DEP_1) | instskip(NEXT) | instid1(VALU_DEP_2)
	v_add_nc_u32_e32 v33, s5, v33
	v_add_co_u32 v34, vcc_lo, v32, s2
	s_wait_alu 0xfffd
	s_delay_alu instid0(VALU_DEP_2)
	v_add_co_ci_u32_e32 v35, vcc_lo, s3, v33, vcc_lo
	global_store_b128 v[8:9], v[0:3], off
	v_mul_f64_e32 v[0:1], s[0:1], v[40:41]
	v_mul_f64_e32 v[2:3], s[0:1], v[42:43]
	;; [unrolled: 1-line block ×3, first 2 shown]
	global_store_b128 v[28:29], v[4:7], off
	v_add_co_u32 v4, vcc_lo, v34, s2
	s_wait_alu 0xfffd
	v_add_co_ci_u32_e32 v5, vcc_lo, s3, v35, vcc_lo
	s_delay_alu instid0(VALU_DEP_2) | instskip(SKIP_1) | instid1(VALU_DEP_2)
	v_add_co_u32 v6, vcc_lo, v4, s2
	s_wait_alu 0xfffd
	v_add_co_ci_u32_e32 v7, vcc_lo, s3, v5, vcc_lo
	s_delay_alu instid0(VALU_DEP_2) | instskip(SKIP_1) | instid1(VALU_DEP_2)
	v_add_co_u32 v28, vcc_lo, v6, s2
	s_wait_alu 0xfffd
	v_add_co_ci_u32_e32 v29, vcc_lo, s3, v7, vcc_lo
	global_store_b128 v[30:31], v[0:3], off
	global_store_b128 v[32:33], v[8:11], off
	;; [unrolled: 1-line block ×6, first 2 shown]
.LBB0_2:
	s_nop 0
	s_sendmsg sendmsg(MSG_DEALLOC_VGPRS)
	s_endpgm
	.section	.rodata,"a",@progbits
	.p2align	6, 0x0
	.amdhsa_kernel bluestein_single_fwd_len375_dim1_dp_op_CI_CI
		.amdhsa_group_segment_fixed_size 30000
		.amdhsa_private_segment_fixed_size 280
		.amdhsa_kernarg_size 104
		.amdhsa_user_sgpr_count 2
		.amdhsa_user_sgpr_dispatch_ptr 0
		.amdhsa_user_sgpr_queue_ptr 0
		.amdhsa_user_sgpr_kernarg_segment_ptr 1
		.amdhsa_user_sgpr_dispatch_id 0
		.amdhsa_user_sgpr_private_segment_size 0
		.amdhsa_wavefront_size32 1
		.amdhsa_uses_dynamic_stack 0
		.amdhsa_enable_private_segment 1
		.amdhsa_system_sgpr_workgroup_id_x 1
		.amdhsa_system_sgpr_workgroup_id_y 0
		.amdhsa_system_sgpr_workgroup_id_z 0
		.amdhsa_system_sgpr_workgroup_info 0
		.amdhsa_system_vgpr_workitem_id 0
		.amdhsa_next_free_vgpr 256
		.amdhsa_next_free_sgpr 22
		.amdhsa_reserve_vcc 1
		.amdhsa_float_round_mode_32 0
		.amdhsa_float_round_mode_16_64 0
		.amdhsa_float_denorm_mode_32 3
		.amdhsa_float_denorm_mode_16_64 3
		.amdhsa_fp16_overflow 0
		.amdhsa_workgroup_processor_mode 1
		.amdhsa_memory_ordered 1
		.amdhsa_forward_progress 0
		.amdhsa_round_robin_scheduling 0
		.amdhsa_exception_fp_ieee_invalid_op 0
		.amdhsa_exception_fp_denorm_src 0
		.amdhsa_exception_fp_ieee_div_zero 0
		.amdhsa_exception_fp_ieee_overflow 0
		.amdhsa_exception_fp_ieee_underflow 0
		.amdhsa_exception_fp_ieee_inexact 0
		.amdhsa_exception_int_div_zero 0
	.end_amdhsa_kernel
	.text
.Lfunc_end0:
	.size	bluestein_single_fwd_len375_dim1_dp_op_CI_CI, .Lfunc_end0-bluestein_single_fwd_len375_dim1_dp_op_CI_CI
                                        ; -- End function
	.section	.AMDGPU.csdata,"",@progbits
; Kernel info:
; codeLenInByte = 18336
; NumSgprs: 24
; NumVgprs: 256
; ScratchSize: 280
; MemoryBound: 0
; FloatMode: 240
; IeeeMode: 1
; LDSByteSize: 30000 bytes/workgroup (compile time only)
; SGPRBlocks: 2
; VGPRBlocks: 31
; NumSGPRsForWavesPerEU: 24
; NumVGPRsForWavesPerEU: 256
; Occupancy: 4
; WaveLimiterHint : 1
; COMPUTE_PGM_RSRC2:SCRATCH_EN: 1
; COMPUTE_PGM_RSRC2:USER_SGPR: 2
; COMPUTE_PGM_RSRC2:TRAP_HANDLER: 0
; COMPUTE_PGM_RSRC2:TGID_X_EN: 1
; COMPUTE_PGM_RSRC2:TGID_Y_EN: 0
; COMPUTE_PGM_RSRC2:TGID_Z_EN: 0
; COMPUTE_PGM_RSRC2:TIDIG_COMP_CNT: 0
	.text
	.p2alignl 7, 3214868480
	.fill 96, 4, 3214868480
	.type	__hip_cuid_fc24c53272fab186,@object ; @__hip_cuid_fc24c53272fab186
	.section	.bss,"aw",@nobits
	.globl	__hip_cuid_fc24c53272fab186
__hip_cuid_fc24c53272fab186:
	.byte	0                               ; 0x0
	.size	__hip_cuid_fc24c53272fab186, 1

	.ident	"AMD clang version 19.0.0git (https://github.com/RadeonOpenCompute/llvm-project roc-6.4.0 25133 c7fe45cf4b819c5991fe208aaa96edf142730f1d)"
	.section	".note.GNU-stack","",@progbits
	.addrsig
	.addrsig_sym __hip_cuid_fc24c53272fab186
	.amdgpu_metadata
---
amdhsa.kernels:
  - .args:
      - .actual_access:  read_only
        .address_space:  global
        .offset:         0
        .size:           8
        .value_kind:     global_buffer
      - .actual_access:  read_only
        .address_space:  global
        .offset:         8
        .size:           8
        .value_kind:     global_buffer
      - .actual_access:  read_only
        .address_space:  global
        .offset:         16
        .size:           8
        .value_kind:     global_buffer
      - .actual_access:  read_only
        .address_space:  global
        .offset:         24
        .size:           8
        .value_kind:     global_buffer
      - .actual_access:  read_only
        .address_space:  global
        .offset:         32
        .size:           8
        .value_kind:     global_buffer
      - .offset:         40
        .size:           8
        .value_kind:     by_value
      - .address_space:  global
        .offset:         48
        .size:           8
        .value_kind:     global_buffer
      - .address_space:  global
        .offset:         56
        .size:           8
        .value_kind:     global_buffer
      - .address_space:  global
        .offset:         64
        .size:           8
        .value_kind:     global_buffer
      - .address_space:  global
        .offset:         72
        .size:           8
        .value_kind:     global_buffer
      - .offset:         80
        .size:           4
        .value_kind:     by_value
      - .address_space:  global
        .offset:         88
        .size:           8
        .value_kind:     global_buffer
      - .address_space:  global
        .offset:         96
        .size:           8
        .value_kind:     global_buffer
    .group_segment_fixed_size: 30000
    .kernarg_segment_align: 8
    .kernarg_segment_size: 104
    .language:       OpenCL C
    .language_version:
      - 2
      - 0
    .max_flat_workgroup_size: 125
    .name:           bluestein_single_fwd_len375_dim1_dp_op_CI_CI
    .private_segment_fixed_size: 280
    .sgpr_count:     24
    .sgpr_spill_count: 0
    .symbol:         bluestein_single_fwd_len375_dim1_dp_op_CI_CI.kd
    .uniform_work_group_size: 1
    .uses_dynamic_stack: false
    .vgpr_count:     256
    .vgpr_spill_count: 69
    .wavefront_size: 32
    .workgroup_processor_mode: 1
amdhsa.target:   amdgcn-amd-amdhsa--gfx1201
amdhsa.version:
  - 1
  - 2
...

	.end_amdgpu_metadata
